;; amdgpu-corpus repo=pytorch/pytorch kind=compiled arch=gfx906 opt=O3
	.amdgcn_target "amdgcn-amd-amdhsa--gfx906"
	.amdhsa_code_object_version 6
	.section	.text._ZN2at6native12_GLOBAL__N_131conv_depthwise2d_forward_kernelILi5EdiEEvN5torch10headeronly6detail27GenericPackedTensorAccessorINS5_14TensorAccessorIN3c108ArrayRefIlEEKT0_Lm3ENS4_16DefaultPtrTraitsEiEENS_6detail16IndexBoundsCheckILm4EiEESC_Lm4ESD_iEENS6_INS7_ISA_SB_Lm3ESD_iEESH_SB_Lm4ESD_iEESI_NS6_INS7_ISA_SC_Lm0ESD_iEENSG_ILm1EiEESC_Lm1ESD_iEEbT1_iiiiiiiiiiiiii,"axG",@progbits,_ZN2at6native12_GLOBAL__N_131conv_depthwise2d_forward_kernelILi5EdiEEvN5torch10headeronly6detail27GenericPackedTensorAccessorINS5_14TensorAccessorIN3c108ArrayRefIlEEKT0_Lm3ENS4_16DefaultPtrTraitsEiEENS_6detail16IndexBoundsCheckILm4EiEESC_Lm4ESD_iEENS6_INS7_ISA_SB_Lm3ESD_iEESH_SB_Lm4ESD_iEESI_NS6_INS7_ISA_SC_Lm0ESD_iEENSG_ILm1EiEESC_Lm1ESD_iEEbT1_iiiiiiiiiiiiii,comdat
	.globl	_ZN2at6native12_GLOBAL__N_131conv_depthwise2d_forward_kernelILi5EdiEEvN5torch10headeronly6detail27GenericPackedTensorAccessorINS5_14TensorAccessorIN3c108ArrayRefIlEEKT0_Lm3ENS4_16DefaultPtrTraitsEiEENS_6detail16IndexBoundsCheckILm4EiEESC_Lm4ESD_iEENS6_INS7_ISA_SB_Lm3ESD_iEESH_SB_Lm4ESD_iEESI_NS6_INS7_ISA_SC_Lm0ESD_iEENSG_ILm1EiEESC_Lm1ESD_iEEbT1_iiiiiiiiiiiiii ; -- Begin function _ZN2at6native12_GLOBAL__N_131conv_depthwise2d_forward_kernelILi5EdiEEvN5torch10headeronly6detail27GenericPackedTensorAccessorINS5_14TensorAccessorIN3c108ArrayRefIlEEKT0_Lm3ENS4_16DefaultPtrTraitsEiEENS_6detail16IndexBoundsCheckILm4EiEESC_Lm4ESD_iEENS6_INS7_ISA_SB_Lm3ESD_iEESH_SB_Lm4ESD_iEESI_NS6_INS7_ISA_SC_Lm0ESD_iEENSG_ILm1EiEESC_Lm1ESD_iEEbT1_iiiiiiiiiiiiii
	.p2align	8
	.type	_ZN2at6native12_GLOBAL__N_131conv_depthwise2d_forward_kernelILi5EdiEEvN5torch10headeronly6detail27GenericPackedTensorAccessorINS5_14TensorAccessorIN3c108ArrayRefIlEEKT0_Lm3ENS4_16DefaultPtrTraitsEiEENS_6detail16IndexBoundsCheckILm4EiEESC_Lm4ESD_iEENS6_INS7_ISA_SB_Lm3ESD_iEESH_SB_Lm4ESD_iEESI_NS6_INS7_ISA_SC_Lm0ESD_iEENSG_ILm1EiEESC_Lm1ESD_iEEbT1_iiiiiiiiiiiiii,@function
_ZN2at6native12_GLOBAL__N_131conv_depthwise2d_forward_kernelILi5EdiEEvN5torch10headeronly6detail27GenericPackedTensorAccessorINS5_14TensorAccessorIN3c108ArrayRefIlEEKT0_Lm3ENS4_16DefaultPtrTraitsEiEENS_6detail16IndexBoundsCheckILm4EiEESC_Lm4ESD_iEENS6_INS7_ISA_SB_Lm3ESD_iEESH_SB_Lm4ESD_iEESI_NS6_INS7_ISA_SC_Lm0ESD_iEENSG_ILm1EiEESC_Lm1ESD_iEEbT1_iiiiiiiiiiiiii: ; @_ZN2at6native12_GLOBAL__N_131conv_depthwise2d_forward_kernelILi5EdiEEvN5torch10headeronly6detail27GenericPackedTensorAccessorINS5_14TensorAccessorIN3c108ArrayRefIlEEKT0_Lm3ENS4_16DefaultPtrTraitsEiEENS_6detail16IndexBoundsCheckILm4EiEESC_Lm4ESD_iEENS6_INS7_ISA_SB_Lm3ESD_iEESH_SB_Lm4ESD_iEESI_NS6_INS7_ISA_SC_Lm0ESD_iEENSG_ILm1EiEESC_Lm1ESD_iEEbT1_iiiiiiiiiiiiii
; %bb.0:
	s_load_dword s0, s[4:5], 0xd4
	s_load_dwordx16 s[8:23], s[4:5], 0x88
	s_add_u32 s2, s4, 0xc8
	s_addc_u32 s3, s5, 0
	v_mov_b32_e32 v9, 0
	s_waitcnt lgkmcnt(0)
	s_and_b32 s7, s0, 0xffff
	s_mul_hi_u32 s33, s7, s6
	s_mul_i32 s40, s7, s6
	v_mov_b32_e32 v2, s33
	v_add_co_u32_e32 v1, vcc, s40, v0
	v_addc_co_u32_e32 v2, vcc, 0, v2, vcc
	s_ashr_i32 s25, s9, 31
	s_mov_b32 s24, s9
	v_cmp_gt_i64_e32 vcc, s[24:25], v[1:2]
	s_and_saveexec_b64 s[0:1], vcc
	s_cbranch_execz .LBB0_107
; %bb.1:
	s_bitcmp1_b32 s8, 0
	s_cselect_b64 s[8:9], -1, 0
	s_cmp_lg_u32 s11, 1
	s_cselect_b64 s[0:1], -1, 0
	s_abs_i32 s41, s14
	v_cvt_f32_u32_e32 v3, s41
	s_abs_i32 s43, s15
	v_cvt_f32_u32_e32 v4, s43
	s_load_dwordx2 s[26:27], s[4:5], 0x0
	s_load_dwordx2 s[34:35], s[4:5], 0x28
	;; [unrolled: 1-line block ×4, first 2 shown]
	s_load_dword s6, s[2:3], 0x0
	v_rcp_iflag_f32_e32 v3, v3
	s_sub_i32 s2, 0, s41
	v_rcp_iflag_f32_e32 v4, v4
	s_abs_i32 s44, s10
	v_mul_f32_e32 v3, 0x4f7ffffe, v3
	v_cvt_u32_f32_e32 v3, v3
	v_cvt_f32_u32_e32 v6, s44
	v_mul_f32_e32 v4, 0x4f7ffffe, v4
	v_cvt_u32_f32_e32 v4, v4
	v_mul_lo_u32 v5, s2, v3
	v_rcp_iflag_f32_e32 v6, v6
	s_sub_i32 s2, 0, s43
	s_abs_i32 s46, s11
	v_mul_hi_u32 v5, v3, v5
	v_mul_lo_u32 v7, s2, v4
	s_sub_i32 s2, 0, s44
	s_ashr_i32 s48, s10, 31
	v_add_u32_e32 v10, v3, v5
	v_mul_f32_e32 v5, 0x4f7ffffe, v6
	v_cvt_f32_u32_e32 v6, s46
	v_mul_hi_u32 v3, v4, v7
	v_cvt_u32_f32_e32 v5, v5
	s_ashr_i32 s11, s11, 31
	v_rcp_iflag_f32_e32 v6, v6
	v_add_u32_e32 v11, v4, v3
	v_mul_lo_u32 v7, s2, v5
	s_sub_i32 s2, 0, s46
	v_mul_f32_e32 v4, 0x4f7ffffe, v6
	v_cvt_u32_f32_e32 v4, v4
	s_mul_i32 s42, s17, s16
	s_waitcnt lgkmcnt(0)
	s_mul_i32 s16, s6, s7
	s_ashr_i32 s45, s14, 31
	v_readfirstlane_b32 s3, v4
	s_mul_i32 s2, s2, s3
	s_mul_hi_u32 s2, s3, s2
	s_add_i32 s49, s3, s2
	s_mul_hi_u32 s3, s44, s49
	s_mul_i32 s4, s3, s46
	s_sub_i32 s4, s44, s4
	s_ashr_i32 s47, s15, 31
	s_xor_b32 s2, s48, s11
	s_add_i32 s5, s3, 1
	s_sub_i32 s6, s4, s46
	v_mul_hi_u32 v3, v5, v7
	s_cmp_ge_u32 s4, s46
	s_cselect_b32 s3, s5, s3
	s_cselect_b32 s4, s6, s4
	s_add_i32 s5, s3, 1
	v_lshlrev_b64 v[1:2], 3, v[1:2]
	s_cmp_ge_u32 s4, s46
	v_add_u32_e32 v12, v5, v3
	s_cselect_b32 s3, s5, s3
	v_mov_b32_e32 v3, s35
	v_add_co_u32_e32 v1, vcc, s34, v1
	s_mov_b32 s17, 0
	s_xor_b32 s3, s3, s2
	v_addc_co_u32_e32 v2, vcc, v3, v2, vcc
	v_cndmask_b32_e64 v3, 0, 1, s[0:1]
	s_sub_i32 s50, s3, s2
	s_lshl_b64 s[34:35], s[16:17], 3
	s_sub_i32 s14, 0, s14
	s_mov_b64 s[36:37], 0
	v_cmp_ne_u32_e64 s[0:1], 1, v3
	s_branch .LBB0_4
.LBB0_2:                                ;   in Loop: Header=BB0_4 Depth=1
	s_or_b64 exec, exec, s[2:3]
.LBB0_3:                                ;   in Loop: Header=BB0_4 Depth=1
	s_or_b64 exec, exec, s[6:7]
	v_add_co_u32_e32 v0, vcc, s16, v0
	v_addc_co_u32_e32 v9, vcc, 0, v9, vcc
	s_waitcnt vmcnt(0)
	global_store_dwordx2 v[1:2], v[3:4], off
	v_mov_b32_e32 v4, s33
	v_add_co_u32_e32 v3, vcc, s40, v0
	v_addc_co_u32_e32 v4, vcc, v4, v9, vcc
	v_cmp_le_i64_e32 vcc, s[24:25], v[3:4]
	v_mov_b32_e32 v3, s35
	s_or_b64 s[36:37], vcc, s[36:37]
	v_add_co_u32_e32 v1, vcc, s34, v1
	v_addc_co_u32_e32 v2, vcc, v2, v3, vcc
	s_andn2_b64 exec, exec, s[36:37]
	s_cbranch_execz .LBB0_107
.LBB0_4:                                ; =>This Inner Loop Header: Depth=1
	v_add_co_u32_e32 v5, vcc, s40, v0
	v_sub_u32_e32 v3, 0, v5
	v_max_i32_e32 v3, v5, v3
	v_mul_hi_u32 v4, v3, v10
	v_ashrrev_i32_e32 v7, 31, v5
	v_xor_b32_e32 v7, s45, v7
	s_mov_b32 s2, s10
	v_mul_lo_u32 v6, v4, s41
	v_add_u32_e32 v8, 1, v4
	v_sub_u32_e32 v3, v3, v6
	v_cmp_le_u32_e32 vcc, s41, v3
	v_subrev_u32_e32 v6, s41, v3
	v_cndmask_b32_e32 v4, v4, v8, vcc
	v_cndmask_b32_e32 v3, v3, v6, vcc
	v_add_u32_e32 v6, 1, v4
	v_cmp_le_u32_e32 vcc, s41, v3
	v_cndmask_b32_e32 v3, v4, v6, vcc
	v_xor_b32_e32 v3, v3, v7
	v_sub_u32_e32 v13, v3, v7
	v_sub_u32_e32 v3, 0, v13
	v_max_i32_e32 v3, v13, v3
	v_mul_hi_u32 v4, v3, v11
	v_ashrrev_i32_e32 v7, 31, v13
	v_xor_b32_e32 v7, s47, v7
	v_mul_lo_u32 v6, v4, s43
	v_add_u32_e32 v8, 1, v4
	v_sub_u32_e32 v3, v3, v6
	v_cmp_le_u32_e32 vcc, s43, v3
	v_subrev_u32_e32 v6, s43, v3
	v_cndmask_b32_e32 v4, v4, v8, vcc
	v_cndmask_b32_e32 v3, v3, v6, vcc
	v_add_u32_e32 v6, 1, v4
	v_cmp_le_u32_e32 vcc, s43, v3
	v_cndmask_b32_e32 v3, v4, v6, vcc
	v_xor_b32_e32 v3, v3, v7
	v_sub_u32_e32 v14, v3, v7
	v_sub_u32_e32 v3, 0, v14
	v_max_i32_e32 v3, v14, v3
	v_mul_hi_u32 v4, v3, v12
	v_ashrrev_i32_e32 v7, 31, v14
	v_xor_b32_e32 v7, s48, v7
	v_mul_lo_u32 v6, v4, s44
	v_add_u32_e32 v8, 1, v4
	v_sub_u32_e32 v3, v3, v6
	v_cmp_le_u32_e32 vcc, s44, v3
	v_subrev_u32_e32 v6, s44, v3
	v_cndmask_b32_e32 v4, v4, v8, vcc
	v_cndmask_b32_e32 v3, v3, v6, vcc
	v_add_u32_e32 v6, 1, v4
	v_cmp_le_u32_e32 vcc, s44, v3
	v_cndmask_b32_e32 v3, v4, v6, vcc
	v_xor_b32_e32 v3, v3, v7
	v_sub_u32_e32 v15, v3, v7
	v_mul_lo_u32 v3, v15, s10
	s_and_b64 vcc, exec, s[0:1]
	v_sub_u32_e32 v6, v14, v3
	v_ashrrev_i32_e32 v7, 31, v6
	v_mov_b32_e32 v8, v6
	s_cbranch_vccnz .LBB0_6
; %bb.5:                                ;   in Loop: Header=BB0_4 Depth=1
	v_sub_u32_e32 v3, 0, v6
	v_max_i32_e32 v3, v6, v3
	v_mul_hi_u32 v4, v3, s49
	v_xor_b32_e32 v16, s11, v7
	s_mov_b32 s2, s50
	v_mul_lo_u32 v8, v4, s46
	v_add_u32_e32 v17, 1, v4
	v_sub_u32_e32 v3, v3, v8
	v_cmp_le_u32_e32 vcc, s46, v3
	v_subrev_u32_e32 v8, s46, v3
	v_cndmask_b32_e32 v4, v4, v17, vcc
	v_cndmask_b32_e32 v3, v3, v8, vcc
	v_add_u32_e32 v8, 1, v4
	v_cmp_le_u32_e32 vcc, s46, v3
	v_cndmask_b32_e32 v3, v4, v8, vcc
	v_xor_b32_e32 v3, v3, v16
	v_sub_u32_e32 v8, v3, v16
.LBB0_6:                                ;   in Loop: Header=BB0_4 Depth=1
	v_mov_b32_e32 v3, 0
	v_mov_b32_e32 v4, 0
	s_andn2_b64 vcc, exec, s[8:9]
	s_cbranch_vccnz .LBB0_8
; %bb.7:                                ;   in Loop: Header=BB0_4 Depth=1
	v_lshlrev_b64 v[3:4], 3, v[6:7]
	v_mov_b32_e32 v7, s31
	v_add_co_u32_e32 v3, vcc, s30, v3
	v_addc_co_u32_e32 v4, vcc, v7, v4, vcc
	global_load_dwordx2 v[3:4], v[3:4], off
.LBB0_8:                                ;   in Loop: Header=BB0_4 Depth=1
	v_mul_lo_u32 v16, v14, s15
	v_mad_u64_u32 v[7:8], s[2:3], s2, v15, v[8:9]
	v_mad_u64_u32 v[14:15], s[2:3], s14, v13, v[5:6]
	v_sub_u32_e32 v5, v13, v16
	v_mul_lo_u32 v8, v5, s19
	v_mul_lo_u32 v16, v7, s13
	;; [unrolled: 1-line block ×4, first 2 shown]
	v_subrev_u32_e32 v17, s21, v8
	v_add_u32_e32 v7, v17, v16
	v_mul_lo_u32 v18, v7, s12
	v_subrev_u32_e32 v7, s20, v6
	v_cmp_lt_i32_e64 s[2:3], -1, v17
	v_cmp_gt_i32_e32 vcc, s13, v17
	s_and_saveexec_b64 s[38:39], s[2:3]
	s_cbranch_execnz .LBB0_13
; %bb.9:                                ;   in Loop: Header=BB0_4 Depth=1
	s_or_b64 exec, exec, s[38:39]
	v_add_u32_e32 v8, s22, v7
	s_and_saveexec_b64 s[38:39], s[2:3]
	s_cbranch_execnz .LBB0_16
.LBB0_10:                               ;   in Loop: Header=BB0_4 Depth=1
	s_or_b64 exec, exec, s[38:39]
	v_add_u32_e32 v13, s22, v8
	s_and_saveexec_b64 s[38:39], s[2:3]
	s_cbranch_execnz .LBB0_19
.LBB0_11:                               ;   in Loop: Header=BB0_4 Depth=1
	s_or_b64 exec, exec, s[38:39]
	v_add_u32_e32 v14, s22, v13
	s_and_saveexec_b64 s[38:39], s[2:3]
	s_cbranch_execnz .LBB0_22
.LBB0_12:                               ;   in Loop: Header=BB0_4 Depth=1
	s_or_b64 exec, exec, s[38:39]
	v_add_u32_e32 v15, s22, v14
	s_and_saveexec_b64 s[6:7], s[2:3]
	s_cbranch_execnz .LBB0_25
	s_branch .LBB0_28
.LBB0_13:                               ;   in Loop: Header=BB0_4 Depth=1
	v_cmp_lt_i32_e64 s[4:5], -1, v7
	v_cmp_gt_i32_e64 s[6:7], s12, v7
	s_and_b64 s[4:5], s[4:5], s[6:7]
	s_and_b64 s[4:5], vcc, s[4:5]
	s_and_saveexec_b64 s[6:7], s[4:5]
	s_cbranch_execz .LBB0_15
; %bb.14:                               ;   in Loop: Header=BB0_4 Depth=1
	v_ashrrev_i32_e32 v6, 31, v5
	v_lshlrev_b64 v[14:15], 3, v[5:6]
	v_mov_b32_e32 v6, s29
	v_add_co_u32_e64 v14, s[4:5], s28, v14
	v_add_u32_e32 v13, v7, v18
	v_addc_co_u32_e64 v15, s[4:5], v6, v15, s[4:5]
	global_load_dwordx2 v[19:20], v[14:15], off
	v_ashrrev_i32_e32 v14, 31, v13
	v_lshlrev_b64 v[13:14], 3, v[13:14]
	v_mov_b32_e32 v6, s27
	v_add_co_u32_e64 v13, s[4:5], s26, v13
	v_addc_co_u32_e64 v14, s[4:5], v6, v14, s[4:5]
	global_load_dwordx2 v[13:14], v[13:14], off
	s_waitcnt vmcnt(0)
	v_fma_f64 v[3:4], v[19:20], v[13:14], v[3:4]
.LBB0_15:                               ;   in Loop: Header=BB0_4 Depth=1
	s_or_b64 exec, exec, s[6:7]
	s_or_b64 exec, exec, s[38:39]
	v_add_u32_e32 v8, s22, v7
	s_and_saveexec_b64 s[38:39], s[2:3]
	s_cbranch_execz .LBB0_10
.LBB0_16:                               ;   in Loop: Header=BB0_4 Depth=1
	v_cmp_lt_i32_e64 s[4:5], -1, v8
	v_cmp_gt_i32_e64 s[6:7], s12, v8
	s_and_b64 s[4:5], s[4:5], s[6:7]
	s_and_b64 s[4:5], vcc, s[4:5]
	s_and_saveexec_b64 s[6:7], s[4:5]
	s_cbranch_execz .LBB0_18
; %bb.17:                               ;   in Loop: Header=BB0_4 Depth=1
	v_ashrrev_i32_e32 v6, 31, v5
	v_lshlrev_b64 v[14:15], 3, v[5:6]
	v_mov_b32_e32 v6, s29
	v_add_co_u32_e64 v14, s[4:5], s28, v14
	v_add_u32_e32 v13, v8, v18
	v_addc_co_u32_e64 v15, s[4:5], v6, v15, s[4:5]
	global_load_dwordx2 v[19:20], v[14:15], off offset:8
	v_ashrrev_i32_e32 v14, 31, v13
	v_lshlrev_b64 v[13:14], 3, v[13:14]
	v_mov_b32_e32 v6, s27
	v_add_co_u32_e64 v13, s[4:5], s26, v13
	v_addc_co_u32_e64 v14, s[4:5], v6, v14, s[4:5]
	global_load_dwordx2 v[13:14], v[13:14], off
	s_waitcnt vmcnt(0)
	v_fma_f64 v[3:4], v[19:20], v[13:14], v[3:4]
.LBB0_18:                               ;   in Loop: Header=BB0_4 Depth=1
	s_or_b64 exec, exec, s[6:7]
	s_or_b64 exec, exec, s[38:39]
	v_add_u32_e32 v13, s22, v8
	s_and_saveexec_b64 s[38:39], s[2:3]
	s_cbranch_execz .LBB0_11
.LBB0_19:                               ;   in Loop: Header=BB0_4 Depth=1
	v_cmp_lt_i32_e64 s[4:5], -1, v13
	v_cmp_gt_i32_e64 s[6:7], s12, v13
	s_and_b64 s[4:5], s[4:5], s[6:7]
	s_and_b64 s[4:5], vcc, s[4:5]
	s_and_saveexec_b64 s[6:7], s[4:5]
	s_cbranch_execz .LBB0_21
; %bb.20:                               ;   in Loop: Header=BB0_4 Depth=1
	v_ashrrev_i32_e32 v6, 31, v5
	v_add_u32_e32 v14, v13, v18
	v_lshlrev_b64 v[19:20], 3, v[5:6]
	v_ashrrev_i32_e32 v15, 31, v14
	v_mov_b32_e32 v6, s29
	v_add_co_u32_e64 v19, s[4:5], s28, v19
	v_lshlrev_b64 v[14:15], 3, v[14:15]
	v_addc_co_u32_e64 v20, s[4:5], v6, v20, s[4:5]
	v_mov_b32_e32 v6, s27
	v_add_co_u32_e64 v14, s[4:5], s26, v14
	v_addc_co_u32_e64 v15, s[4:5], v6, v15, s[4:5]
	global_load_dwordx2 v[19:20], v[19:20], off offset:16
	s_nop 0
	global_load_dwordx2 v[14:15], v[14:15], off
	s_waitcnt vmcnt(0)
	v_fma_f64 v[3:4], v[19:20], v[14:15], v[3:4]
.LBB0_21:                               ;   in Loop: Header=BB0_4 Depth=1
	s_or_b64 exec, exec, s[6:7]
	s_or_b64 exec, exec, s[38:39]
	v_add_u32_e32 v14, s22, v13
	s_and_saveexec_b64 s[38:39], s[2:3]
	s_cbranch_execz .LBB0_12
.LBB0_22:                               ;   in Loop: Header=BB0_4 Depth=1
	v_cmp_lt_i32_e64 s[4:5], -1, v14
	v_cmp_gt_i32_e64 s[6:7], s12, v14
	s_and_b64 s[4:5], s[4:5], s[6:7]
	s_and_b64 s[4:5], vcc, s[4:5]
	s_and_saveexec_b64 s[6:7], s[4:5]
	s_cbranch_execz .LBB0_24
; %bb.23:                               ;   in Loop: Header=BB0_4 Depth=1
	v_ashrrev_i32_e32 v6, 31, v5
	v_lshlrev_b64 v[20:21], 3, v[5:6]
	v_mov_b32_e32 v6, s29
	v_add_co_u32_e64 v20, s[4:5], s28, v20
	v_add_u32_e32 v19, v14, v18
	v_addc_co_u32_e64 v21, s[4:5], v6, v21, s[4:5]
	global_load_dwordx2 v[21:22], v[20:21], off offset:24
	v_ashrrev_i32_e32 v20, 31, v19
	v_lshlrev_b64 v[19:20], 3, v[19:20]
	v_mov_b32_e32 v6, s27
	v_add_co_u32_e64 v19, s[4:5], s26, v19
	v_addc_co_u32_e64 v20, s[4:5], v6, v20, s[4:5]
	global_load_dwordx2 v[19:20], v[19:20], off
	s_waitcnt vmcnt(0)
	v_fma_f64 v[3:4], v[21:22], v[19:20], v[3:4]
.LBB0_24:                               ;   in Loop: Header=BB0_4 Depth=1
	s_or_b64 exec, exec, s[6:7]
	s_or_b64 exec, exec, s[38:39]
	v_add_u32_e32 v15, s22, v14
	s_and_saveexec_b64 s[6:7], s[2:3]
	s_cbranch_execz .LBB0_28
.LBB0_25:                               ;   in Loop: Header=BB0_4 Depth=1
	v_cmp_lt_i32_e64 s[2:3], -1, v15
	v_cmp_gt_i32_e64 s[4:5], s12, v15
	s_and_b64 s[2:3], s[2:3], s[4:5]
	s_and_b64 s[4:5], vcc, s[2:3]
	s_and_saveexec_b64 s[2:3], s[4:5]
	s_cbranch_execz .LBB0_27
; %bb.26:                               ;   in Loop: Header=BB0_4 Depth=1
	v_ashrrev_i32_e32 v6, 31, v5
	v_lshlrev_b64 v[19:20], 3, v[5:6]
	v_mov_b32_e32 v6, s29
	v_add_co_u32_e32 v19, vcc, s28, v19
	v_add_u32_e32 v18, v15, v18
	v_addc_co_u32_e32 v20, vcc, v6, v20, vcc
	global_load_dwordx2 v[20:21], v[19:20], off offset:32
	v_ashrrev_i32_e32 v19, 31, v18
	v_lshlrev_b64 v[18:19], 3, v[18:19]
	v_mov_b32_e32 v6, s27
	v_add_co_u32_e32 v18, vcc, s26, v18
	v_addc_co_u32_e32 v19, vcc, v6, v19, vcc
	global_load_dwordx2 v[18:19], v[18:19], off
	s_waitcnt vmcnt(0)
	v_fma_f64 v[3:4], v[20:21], v[18:19], v[3:4]
.LBB0_27:                               ;   in Loop: Header=BB0_4 Depth=1
	s_or_b64 exec, exec, s[2:3]
.LBB0_28:                               ;   in Loop: Header=BB0_4 Depth=1
	s_or_b64 exec, exec, s[6:7]
	v_add_u32_e32 v17, s23, v17
	v_add_u32_e32 v6, v17, v16
	v_mul_lo_u32 v18, v6, s12
	v_cmp_lt_i32_e64 s[2:3], -1, v17
	v_cmp_gt_i32_e32 vcc, s13, v17
	s_and_saveexec_b64 s[38:39], s[2:3]
	s_cbranch_execnz .LBB0_33
; %bb.29:                               ;   in Loop: Header=BB0_4 Depth=1
	s_or_b64 exec, exec, s[38:39]
	s_and_saveexec_b64 s[38:39], s[2:3]
	s_cbranch_execnz .LBB0_36
.LBB0_30:                               ;   in Loop: Header=BB0_4 Depth=1
	s_or_b64 exec, exec, s[38:39]
	s_and_saveexec_b64 s[38:39], s[2:3]
	s_cbranch_execnz .LBB0_39
.LBB0_31:                               ;   in Loop: Header=BB0_4 Depth=1
	s_or_b64 exec, exec, s[38:39]
	s_and_saveexec_b64 s[38:39], s[2:3]
	s_cbranch_execnz .LBB0_42
.LBB0_32:                               ;   in Loop: Header=BB0_4 Depth=1
	s_or_b64 exec, exec, s[38:39]
	s_and_saveexec_b64 s[6:7], s[2:3]
	s_cbranch_execnz .LBB0_45
	s_branch .LBB0_48
.LBB0_33:                               ;   in Loop: Header=BB0_4 Depth=1
	v_cmp_lt_i32_e64 s[4:5], -1, v7
	v_cmp_gt_i32_e64 s[6:7], s12, v7
	s_and_b64 s[4:5], s[4:5], s[6:7]
	s_and_b64 s[4:5], vcc, s[4:5]
	s_and_saveexec_b64 s[6:7], s[4:5]
	s_cbranch_execz .LBB0_35
; %bb.34:                               ;   in Loop: Header=BB0_4 Depth=1
	v_ashrrev_i32_e32 v6, 31, v5
	v_lshlrev_b64 v[20:21], 3, v[5:6]
	v_mov_b32_e32 v6, s29
	v_add_co_u32_e64 v20, s[4:5], s28, v20
	v_add_u32_e32 v19, v7, v18
	v_addc_co_u32_e64 v21, s[4:5], v6, v21, s[4:5]
	global_load_dwordx2 v[21:22], v[20:21], off offset:40
	v_ashrrev_i32_e32 v20, 31, v19
	v_lshlrev_b64 v[19:20], 3, v[19:20]
	v_mov_b32_e32 v6, s27
	v_add_co_u32_e64 v19, s[4:5], s26, v19
	v_addc_co_u32_e64 v20, s[4:5], v6, v20, s[4:5]
	global_load_dwordx2 v[19:20], v[19:20], off
	s_waitcnt vmcnt(0)
	v_fma_f64 v[3:4], v[21:22], v[19:20], v[3:4]
.LBB0_35:                               ;   in Loop: Header=BB0_4 Depth=1
	s_or_b64 exec, exec, s[6:7]
	s_or_b64 exec, exec, s[38:39]
	s_and_saveexec_b64 s[38:39], s[2:3]
	s_cbranch_execz .LBB0_30
.LBB0_36:                               ;   in Loop: Header=BB0_4 Depth=1
	v_cmp_lt_i32_e64 s[4:5], -1, v8
	v_cmp_gt_i32_e64 s[6:7], s12, v8
	s_and_b64 s[4:5], s[4:5], s[6:7]
	s_and_b64 s[4:5], vcc, s[4:5]
	s_and_saveexec_b64 s[6:7], s[4:5]
	s_cbranch_execz .LBB0_38
; %bb.37:                               ;   in Loop: Header=BB0_4 Depth=1
	v_ashrrev_i32_e32 v6, 31, v5
	v_lshlrev_b64 v[20:21], 3, v[5:6]
	v_mov_b32_e32 v6, s29
	v_add_co_u32_e64 v20, s[4:5], s28, v20
	v_add_u32_e32 v19, v8, v18
	v_addc_co_u32_e64 v21, s[4:5], v6, v21, s[4:5]
	global_load_dwordx2 v[21:22], v[20:21], off offset:48
	v_ashrrev_i32_e32 v20, 31, v19
	v_lshlrev_b64 v[19:20], 3, v[19:20]
	v_mov_b32_e32 v6, s27
	v_add_co_u32_e64 v19, s[4:5], s26, v19
	v_addc_co_u32_e64 v20, s[4:5], v6, v20, s[4:5]
	global_load_dwordx2 v[19:20], v[19:20], off
	s_waitcnt vmcnt(0)
	v_fma_f64 v[3:4], v[21:22], v[19:20], v[3:4]
.LBB0_38:                               ;   in Loop: Header=BB0_4 Depth=1
	s_or_b64 exec, exec, s[6:7]
	s_or_b64 exec, exec, s[38:39]
	s_and_saveexec_b64 s[38:39], s[2:3]
	s_cbranch_execz .LBB0_31
.LBB0_39:                               ;   in Loop: Header=BB0_4 Depth=1
	v_cmp_lt_i32_e64 s[4:5], -1, v13
	v_cmp_gt_i32_e64 s[6:7], s12, v13
	s_and_b64 s[4:5], s[4:5], s[6:7]
	s_and_b64 s[4:5], vcc, s[4:5]
	s_and_saveexec_b64 s[6:7], s[4:5]
	s_cbranch_execz .LBB0_41
; %bb.40:                               ;   in Loop: Header=BB0_4 Depth=1
	v_ashrrev_i32_e32 v6, 31, v5
	v_lshlrev_b64 v[20:21], 3, v[5:6]
	v_mov_b32_e32 v6, s29
	v_add_co_u32_e64 v20, s[4:5], s28, v20
	v_add_u32_e32 v19, v13, v18
	v_addc_co_u32_e64 v21, s[4:5], v6, v21, s[4:5]
	global_load_dwordx2 v[21:22], v[20:21], off offset:56
	v_ashrrev_i32_e32 v20, 31, v19
	v_lshlrev_b64 v[19:20], 3, v[19:20]
	v_mov_b32_e32 v6, s27
	v_add_co_u32_e64 v19, s[4:5], s26, v19
	v_addc_co_u32_e64 v20, s[4:5], v6, v20, s[4:5]
	global_load_dwordx2 v[19:20], v[19:20], off
	s_waitcnt vmcnt(0)
	v_fma_f64 v[3:4], v[21:22], v[19:20], v[3:4]
.LBB0_41:                               ;   in Loop: Header=BB0_4 Depth=1
	s_or_b64 exec, exec, s[6:7]
	s_or_b64 exec, exec, s[38:39]
	s_and_saveexec_b64 s[38:39], s[2:3]
	s_cbranch_execz .LBB0_32
.LBB0_42:                               ;   in Loop: Header=BB0_4 Depth=1
	v_cmp_lt_i32_e64 s[4:5], -1, v14
	v_cmp_gt_i32_e64 s[6:7], s12, v14
	s_and_b64 s[4:5], s[4:5], s[6:7]
	s_and_b64 s[4:5], vcc, s[4:5]
	s_and_saveexec_b64 s[6:7], s[4:5]
	s_cbranch_execz .LBB0_44
; %bb.43:                               ;   in Loop: Header=BB0_4 Depth=1
	v_ashrrev_i32_e32 v6, 31, v5
	v_lshlrev_b64 v[20:21], 3, v[5:6]
	v_mov_b32_e32 v6, s29
	v_add_co_u32_e64 v20, s[4:5], s28, v20
	v_add_u32_e32 v19, v14, v18
	v_addc_co_u32_e64 v21, s[4:5], v6, v21, s[4:5]
	global_load_dwordx2 v[21:22], v[20:21], off offset:64
	v_ashrrev_i32_e32 v20, 31, v19
	v_lshlrev_b64 v[19:20], 3, v[19:20]
	v_mov_b32_e32 v6, s27
	v_add_co_u32_e64 v19, s[4:5], s26, v19
	v_addc_co_u32_e64 v20, s[4:5], v6, v20, s[4:5]
	global_load_dwordx2 v[19:20], v[19:20], off
	s_waitcnt vmcnt(0)
	v_fma_f64 v[3:4], v[21:22], v[19:20], v[3:4]
.LBB0_44:                               ;   in Loop: Header=BB0_4 Depth=1
	s_or_b64 exec, exec, s[6:7]
	s_or_b64 exec, exec, s[38:39]
	s_and_saveexec_b64 s[6:7], s[2:3]
	s_cbranch_execz .LBB0_48
.LBB0_45:                               ;   in Loop: Header=BB0_4 Depth=1
	v_cmp_lt_i32_e64 s[2:3], -1, v15
	v_cmp_gt_i32_e64 s[4:5], s12, v15
	s_and_b64 s[2:3], s[2:3], s[4:5]
	s_and_b64 s[4:5], vcc, s[2:3]
	s_and_saveexec_b64 s[2:3], s[4:5]
	s_cbranch_execz .LBB0_47
; %bb.46:                               ;   in Loop: Header=BB0_4 Depth=1
	v_ashrrev_i32_e32 v6, 31, v5
	v_lshlrev_b64 v[19:20], 3, v[5:6]
	v_mov_b32_e32 v6, s29
	v_add_co_u32_e32 v19, vcc, s28, v19
	v_add_u32_e32 v18, v15, v18
	v_addc_co_u32_e32 v20, vcc, v6, v20, vcc
	global_load_dwordx2 v[20:21], v[19:20], off offset:72
	v_ashrrev_i32_e32 v19, 31, v18
	v_lshlrev_b64 v[18:19], 3, v[18:19]
	v_mov_b32_e32 v6, s27
	v_add_co_u32_e32 v18, vcc, s26, v18
	v_addc_co_u32_e32 v19, vcc, v6, v19, vcc
	global_load_dwordx2 v[18:19], v[18:19], off
	s_waitcnt vmcnt(0)
	v_fma_f64 v[3:4], v[20:21], v[18:19], v[3:4]
.LBB0_47:                               ;   in Loop: Header=BB0_4 Depth=1
	s_or_b64 exec, exec, s[2:3]
.LBB0_48:                               ;   in Loop: Header=BB0_4 Depth=1
	s_or_b64 exec, exec, s[6:7]
	v_add_u32_e32 v17, s23, v17
	v_add_u32_e32 v6, v17, v16
	v_mul_lo_u32 v18, v6, s12
	v_cmp_lt_i32_e64 s[2:3], -1, v17
	v_cmp_gt_i32_e32 vcc, s13, v17
	s_and_saveexec_b64 s[38:39], s[2:3]
	s_cbranch_execnz .LBB0_53
; %bb.49:                               ;   in Loop: Header=BB0_4 Depth=1
	s_or_b64 exec, exec, s[38:39]
	s_and_saveexec_b64 s[38:39], s[2:3]
	s_cbranch_execnz .LBB0_56
.LBB0_50:                               ;   in Loop: Header=BB0_4 Depth=1
	s_or_b64 exec, exec, s[38:39]
	s_and_saveexec_b64 s[38:39], s[2:3]
	s_cbranch_execnz .LBB0_59
.LBB0_51:                               ;   in Loop: Header=BB0_4 Depth=1
	s_or_b64 exec, exec, s[38:39]
	s_and_saveexec_b64 s[38:39], s[2:3]
	s_cbranch_execnz .LBB0_62
.LBB0_52:                               ;   in Loop: Header=BB0_4 Depth=1
	s_or_b64 exec, exec, s[38:39]
	s_and_saveexec_b64 s[6:7], s[2:3]
	s_cbranch_execnz .LBB0_65
	s_branch .LBB0_68
.LBB0_53:                               ;   in Loop: Header=BB0_4 Depth=1
	v_cmp_lt_i32_e64 s[4:5], -1, v7
	v_cmp_gt_i32_e64 s[6:7], s12, v7
	s_and_b64 s[4:5], s[4:5], s[6:7]
	s_and_b64 s[4:5], vcc, s[4:5]
	s_and_saveexec_b64 s[6:7], s[4:5]
	s_cbranch_execz .LBB0_55
; %bb.54:                               ;   in Loop: Header=BB0_4 Depth=1
	v_ashrrev_i32_e32 v6, 31, v5
	v_lshlrev_b64 v[20:21], 3, v[5:6]
	v_mov_b32_e32 v6, s29
	v_add_co_u32_e64 v20, s[4:5], s28, v20
	v_add_u32_e32 v19, v7, v18
	v_addc_co_u32_e64 v21, s[4:5], v6, v21, s[4:5]
	global_load_dwordx2 v[21:22], v[20:21], off offset:80
	v_ashrrev_i32_e32 v20, 31, v19
	v_lshlrev_b64 v[19:20], 3, v[19:20]
	v_mov_b32_e32 v6, s27
	v_add_co_u32_e64 v19, s[4:5], s26, v19
	v_addc_co_u32_e64 v20, s[4:5], v6, v20, s[4:5]
	global_load_dwordx2 v[19:20], v[19:20], off
	s_waitcnt vmcnt(0)
	v_fma_f64 v[3:4], v[21:22], v[19:20], v[3:4]
.LBB0_55:                               ;   in Loop: Header=BB0_4 Depth=1
	s_or_b64 exec, exec, s[6:7]
	s_or_b64 exec, exec, s[38:39]
	s_and_saveexec_b64 s[38:39], s[2:3]
	s_cbranch_execz .LBB0_50
.LBB0_56:                               ;   in Loop: Header=BB0_4 Depth=1
	v_cmp_lt_i32_e64 s[4:5], -1, v8
	v_cmp_gt_i32_e64 s[6:7], s12, v8
	s_and_b64 s[4:5], s[4:5], s[6:7]
	s_and_b64 s[4:5], vcc, s[4:5]
	s_and_saveexec_b64 s[6:7], s[4:5]
	s_cbranch_execz .LBB0_58
; %bb.57:                               ;   in Loop: Header=BB0_4 Depth=1
	v_ashrrev_i32_e32 v6, 31, v5
	v_lshlrev_b64 v[20:21], 3, v[5:6]
	v_mov_b32_e32 v6, s29
	v_add_co_u32_e64 v20, s[4:5], s28, v20
	v_add_u32_e32 v19, v8, v18
	v_addc_co_u32_e64 v21, s[4:5], v6, v21, s[4:5]
	global_load_dwordx2 v[21:22], v[20:21], off offset:88
	v_ashrrev_i32_e32 v20, 31, v19
	v_lshlrev_b64 v[19:20], 3, v[19:20]
	v_mov_b32_e32 v6, s27
	v_add_co_u32_e64 v19, s[4:5], s26, v19
	v_addc_co_u32_e64 v20, s[4:5], v6, v20, s[4:5]
	global_load_dwordx2 v[19:20], v[19:20], off
	s_waitcnt vmcnt(0)
	v_fma_f64 v[3:4], v[21:22], v[19:20], v[3:4]
.LBB0_58:                               ;   in Loop: Header=BB0_4 Depth=1
	s_or_b64 exec, exec, s[6:7]
	s_or_b64 exec, exec, s[38:39]
	s_and_saveexec_b64 s[38:39], s[2:3]
	s_cbranch_execz .LBB0_51
.LBB0_59:                               ;   in Loop: Header=BB0_4 Depth=1
	v_cmp_lt_i32_e64 s[4:5], -1, v13
	v_cmp_gt_i32_e64 s[6:7], s12, v13
	s_and_b64 s[4:5], s[4:5], s[6:7]
	s_and_b64 s[4:5], vcc, s[4:5]
	s_and_saveexec_b64 s[6:7], s[4:5]
	s_cbranch_execz .LBB0_61
; %bb.60:                               ;   in Loop: Header=BB0_4 Depth=1
	v_ashrrev_i32_e32 v6, 31, v5
	v_lshlrev_b64 v[20:21], 3, v[5:6]
	v_mov_b32_e32 v6, s29
	v_add_co_u32_e64 v20, s[4:5], s28, v20
	v_add_u32_e32 v19, v13, v18
	v_addc_co_u32_e64 v21, s[4:5], v6, v21, s[4:5]
	global_load_dwordx2 v[21:22], v[20:21], off offset:96
	v_ashrrev_i32_e32 v20, 31, v19
	v_lshlrev_b64 v[19:20], 3, v[19:20]
	v_mov_b32_e32 v6, s27
	v_add_co_u32_e64 v19, s[4:5], s26, v19
	v_addc_co_u32_e64 v20, s[4:5], v6, v20, s[4:5]
	global_load_dwordx2 v[19:20], v[19:20], off
	s_waitcnt vmcnt(0)
	v_fma_f64 v[3:4], v[21:22], v[19:20], v[3:4]
.LBB0_61:                               ;   in Loop: Header=BB0_4 Depth=1
	s_or_b64 exec, exec, s[6:7]
	s_or_b64 exec, exec, s[38:39]
	s_and_saveexec_b64 s[38:39], s[2:3]
	s_cbranch_execz .LBB0_52
.LBB0_62:                               ;   in Loop: Header=BB0_4 Depth=1
	v_cmp_lt_i32_e64 s[4:5], -1, v14
	v_cmp_gt_i32_e64 s[6:7], s12, v14
	s_and_b64 s[4:5], s[4:5], s[6:7]
	s_and_b64 s[4:5], vcc, s[4:5]
	s_and_saveexec_b64 s[6:7], s[4:5]
	s_cbranch_execz .LBB0_64
; %bb.63:                               ;   in Loop: Header=BB0_4 Depth=1
	v_ashrrev_i32_e32 v6, 31, v5
	v_lshlrev_b64 v[20:21], 3, v[5:6]
	v_mov_b32_e32 v6, s29
	v_add_co_u32_e64 v20, s[4:5], s28, v20
	v_add_u32_e32 v19, v14, v18
	v_addc_co_u32_e64 v21, s[4:5], v6, v21, s[4:5]
	global_load_dwordx2 v[21:22], v[20:21], off offset:104
	v_ashrrev_i32_e32 v20, 31, v19
	v_lshlrev_b64 v[19:20], 3, v[19:20]
	v_mov_b32_e32 v6, s27
	v_add_co_u32_e64 v19, s[4:5], s26, v19
	v_addc_co_u32_e64 v20, s[4:5], v6, v20, s[4:5]
	global_load_dwordx2 v[19:20], v[19:20], off
	s_waitcnt vmcnt(0)
	v_fma_f64 v[3:4], v[21:22], v[19:20], v[3:4]
.LBB0_64:                               ;   in Loop: Header=BB0_4 Depth=1
	s_or_b64 exec, exec, s[6:7]
	s_or_b64 exec, exec, s[38:39]
	s_and_saveexec_b64 s[6:7], s[2:3]
	s_cbranch_execz .LBB0_68
.LBB0_65:                               ;   in Loop: Header=BB0_4 Depth=1
	v_cmp_lt_i32_e64 s[2:3], -1, v15
	v_cmp_gt_i32_e64 s[4:5], s12, v15
	s_and_b64 s[2:3], s[2:3], s[4:5]
	s_and_b64 s[4:5], vcc, s[2:3]
	s_and_saveexec_b64 s[2:3], s[4:5]
	s_cbranch_execz .LBB0_67
; %bb.66:                               ;   in Loop: Header=BB0_4 Depth=1
	v_ashrrev_i32_e32 v6, 31, v5
	v_lshlrev_b64 v[19:20], 3, v[5:6]
	v_mov_b32_e32 v6, s29
	v_add_co_u32_e32 v19, vcc, s28, v19
	v_add_u32_e32 v18, v15, v18
	v_addc_co_u32_e32 v20, vcc, v6, v20, vcc
	global_load_dwordx2 v[20:21], v[19:20], off offset:112
	v_ashrrev_i32_e32 v19, 31, v18
	v_lshlrev_b64 v[18:19], 3, v[18:19]
	v_mov_b32_e32 v6, s27
	v_add_co_u32_e32 v18, vcc, s26, v18
	v_addc_co_u32_e32 v19, vcc, v6, v19, vcc
	global_load_dwordx2 v[18:19], v[18:19], off
	s_waitcnt vmcnt(0)
	v_fma_f64 v[3:4], v[20:21], v[18:19], v[3:4]
.LBB0_67:                               ;   in Loop: Header=BB0_4 Depth=1
	s_or_b64 exec, exec, s[2:3]
.LBB0_68:                               ;   in Loop: Header=BB0_4 Depth=1
	s_or_b64 exec, exec, s[6:7]
	v_add_u32_e32 v17, s23, v17
	v_add_u32_e32 v6, v17, v16
	v_mul_lo_u32 v18, v6, s12
	v_cmp_lt_i32_e64 s[2:3], -1, v17
	v_cmp_gt_i32_e32 vcc, s13, v17
	s_and_saveexec_b64 s[38:39], s[2:3]
	s_cbranch_execnz .LBB0_73
; %bb.69:                               ;   in Loop: Header=BB0_4 Depth=1
	s_or_b64 exec, exec, s[38:39]
	s_and_saveexec_b64 s[38:39], s[2:3]
	s_cbranch_execnz .LBB0_76
.LBB0_70:                               ;   in Loop: Header=BB0_4 Depth=1
	s_or_b64 exec, exec, s[38:39]
	s_and_saveexec_b64 s[38:39], s[2:3]
	s_cbranch_execnz .LBB0_79
.LBB0_71:                               ;   in Loop: Header=BB0_4 Depth=1
	s_or_b64 exec, exec, s[38:39]
	s_and_saveexec_b64 s[38:39], s[2:3]
	s_cbranch_execnz .LBB0_82
.LBB0_72:                               ;   in Loop: Header=BB0_4 Depth=1
	s_or_b64 exec, exec, s[38:39]
	s_and_saveexec_b64 s[6:7], s[2:3]
	s_cbranch_execnz .LBB0_85
	s_branch .LBB0_88
.LBB0_73:                               ;   in Loop: Header=BB0_4 Depth=1
	v_cmp_lt_i32_e64 s[4:5], -1, v7
	v_cmp_gt_i32_e64 s[6:7], s12, v7
	s_and_b64 s[4:5], s[4:5], s[6:7]
	s_and_b64 s[4:5], vcc, s[4:5]
	s_and_saveexec_b64 s[6:7], s[4:5]
	s_cbranch_execz .LBB0_75
; %bb.74:                               ;   in Loop: Header=BB0_4 Depth=1
	v_ashrrev_i32_e32 v6, 31, v5
	v_lshlrev_b64 v[20:21], 3, v[5:6]
	v_mov_b32_e32 v6, s29
	v_add_co_u32_e64 v20, s[4:5], s28, v20
	v_add_u32_e32 v19, v7, v18
	v_addc_co_u32_e64 v21, s[4:5], v6, v21, s[4:5]
	global_load_dwordx2 v[21:22], v[20:21], off offset:120
	v_ashrrev_i32_e32 v20, 31, v19
	v_lshlrev_b64 v[19:20], 3, v[19:20]
	v_mov_b32_e32 v6, s27
	v_add_co_u32_e64 v19, s[4:5], s26, v19
	v_addc_co_u32_e64 v20, s[4:5], v6, v20, s[4:5]
	global_load_dwordx2 v[19:20], v[19:20], off
	s_waitcnt vmcnt(0)
	v_fma_f64 v[3:4], v[21:22], v[19:20], v[3:4]
.LBB0_75:                               ;   in Loop: Header=BB0_4 Depth=1
	s_or_b64 exec, exec, s[6:7]
	s_or_b64 exec, exec, s[38:39]
	s_and_saveexec_b64 s[38:39], s[2:3]
	s_cbranch_execz .LBB0_70
.LBB0_76:                               ;   in Loop: Header=BB0_4 Depth=1
	v_cmp_lt_i32_e64 s[4:5], -1, v8
	v_cmp_gt_i32_e64 s[6:7], s12, v8
	s_and_b64 s[4:5], s[4:5], s[6:7]
	s_and_b64 s[4:5], vcc, s[4:5]
	s_and_saveexec_b64 s[6:7], s[4:5]
	s_cbranch_execz .LBB0_78
; %bb.77:                               ;   in Loop: Header=BB0_4 Depth=1
	v_ashrrev_i32_e32 v6, 31, v5
	v_lshlrev_b64 v[20:21], 3, v[5:6]
	v_mov_b32_e32 v6, s29
	v_add_co_u32_e64 v20, s[4:5], s28, v20
	v_add_u32_e32 v19, v8, v18
	v_addc_co_u32_e64 v21, s[4:5], v6, v21, s[4:5]
	global_load_dwordx2 v[21:22], v[20:21], off offset:128
	v_ashrrev_i32_e32 v20, 31, v19
	v_lshlrev_b64 v[19:20], 3, v[19:20]
	v_mov_b32_e32 v6, s27
	v_add_co_u32_e64 v19, s[4:5], s26, v19
	v_addc_co_u32_e64 v20, s[4:5], v6, v20, s[4:5]
	global_load_dwordx2 v[19:20], v[19:20], off
	s_waitcnt vmcnt(0)
	v_fma_f64 v[3:4], v[21:22], v[19:20], v[3:4]
.LBB0_78:                               ;   in Loop: Header=BB0_4 Depth=1
	s_or_b64 exec, exec, s[6:7]
	s_or_b64 exec, exec, s[38:39]
	s_and_saveexec_b64 s[38:39], s[2:3]
	s_cbranch_execz .LBB0_71
.LBB0_79:                               ;   in Loop: Header=BB0_4 Depth=1
	v_cmp_lt_i32_e64 s[4:5], -1, v13
	v_cmp_gt_i32_e64 s[6:7], s12, v13
	s_and_b64 s[4:5], s[4:5], s[6:7]
	s_and_b64 s[4:5], vcc, s[4:5]
	s_and_saveexec_b64 s[6:7], s[4:5]
	s_cbranch_execz .LBB0_81
; %bb.80:                               ;   in Loop: Header=BB0_4 Depth=1
	v_ashrrev_i32_e32 v6, 31, v5
	v_lshlrev_b64 v[20:21], 3, v[5:6]
	v_mov_b32_e32 v6, s29
	v_add_co_u32_e64 v20, s[4:5], s28, v20
	v_add_u32_e32 v19, v13, v18
	v_addc_co_u32_e64 v21, s[4:5], v6, v21, s[4:5]
	global_load_dwordx2 v[21:22], v[20:21], off offset:136
	v_ashrrev_i32_e32 v20, 31, v19
	v_lshlrev_b64 v[19:20], 3, v[19:20]
	v_mov_b32_e32 v6, s27
	v_add_co_u32_e64 v19, s[4:5], s26, v19
	v_addc_co_u32_e64 v20, s[4:5], v6, v20, s[4:5]
	global_load_dwordx2 v[19:20], v[19:20], off
	s_waitcnt vmcnt(0)
	v_fma_f64 v[3:4], v[21:22], v[19:20], v[3:4]
.LBB0_81:                               ;   in Loop: Header=BB0_4 Depth=1
	s_or_b64 exec, exec, s[6:7]
	s_or_b64 exec, exec, s[38:39]
	s_and_saveexec_b64 s[38:39], s[2:3]
	s_cbranch_execz .LBB0_72
.LBB0_82:                               ;   in Loop: Header=BB0_4 Depth=1
	v_cmp_lt_i32_e64 s[4:5], -1, v14
	v_cmp_gt_i32_e64 s[6:7], s12, v14
	s_and_b64 s[4:5], s[4:5], s[6:7]
	s_and_b64 s[4:5], vcc, s[4:5]
	s_and_saveexec_b64 s[6:7], s[4:5]
	s_cbranch_execz .LBB0_84
; %bb.83:                               ;   in Loop: Header=BB0_4 Depth=1
	v_ashrrev_i32_e32 v6, 31, v5
	v_lshlrev_b64 v[20:21], 3, v[5:6]
	v_mov_b32_e32 v6, s29
	v_add_co_u32_e64 v20, s[4:5], s28, v20
	v_add_u32_e32 v19, v14, v18
	v_addc_co_u32_e64 v21, s[4:5], v6, v21, s[4:5]
	global_load_dwordx2 v[21:22], v[20:21], off offset:144
	v_ashrrev_i32_e32 v20, 31, v19
	v_lshlrev_b64 v[19:20], 3, v[19:20]
	v_mov_b32_e32 v6, s27
	v_add_co_u32_e64 v19, s[4:5], s26, v19
	v_addc_co_u32_e64 v20, s[4:5], v6, v20, s[4:5]
	global_load_dwordx2 v[19:20], v[19:20], off
	s_waitcnt vmcnt(0)
	v_fma_f64 v[3:4], v[21:22], v[19:20], v[3:4]
.LBB0_84:                               ;   in Loop: Header=BB0_4 Depth=1
	s_or_b64 exec, exec, s[6:7]
	s_or_b64 exec, exec, s[38:39]
	s_and_saveexec_b64 s[6:7], s[2:3]
	s_cbranch_execz .LBB0_88
.LBB0_85:                               ;   in Loop: Header=BB0_4 Depth=1
	v_cmp_lt_i32_e64 s[2:3], -1, v15
	v_cmp_gt_i32_e64 s[4:5], s12, v15
	s_and_b64 s[2:3], s[2:3], s[4:5]
	s_and_b64 s[4:5], vcc, s[2:3]
	s_and_saveexec_b64 s[2:3], s[4:5]
	s_cbranch_execz .LBB0_87
; %bb.86:                               ;   in Loop: Header=BB0_4 Depth=1
	v_ashrrev_i32_e32 v6, 31, v5
	v_lshlrev_b64 v[19:20], 3, v[5:6]
	v_mov_b32_e32 v6, s29
	v_add_co_u32_e32 v19, vcc, s28, v19
	v_add_u32_e32 v18, v15, v18
	v_addc_co_u32_e32 v20, vcc, v6, v20, vcc
	global_load_dwordx2 v[20:21], v[19:20], off offset:152
	v_ashrrev_i32_e32 v19, 31, v18
	v_lshlrev_b64 v[18:19], 3, v[18:19]
	v_mov_b32_e32 v6, s27
	v_add_co_u32_e32 v18, vcc, s26, v18
	v_addc_co_u32_e32 v19, vcc, v6, v19, vcc
	global_load_dwordx2 v[18:19], v[18:19], off
	s_waitcnt vmcnt(0)
	v_fma_f64 v[3:4], v[20:21], v[18:19], v[3:4]
.LBB0_87:                               ;   in Loop: Header=BB0_4 Depth=1
	s_or_b64 exec, exec, s[2:3]
.LBB0_88:                               ;   in Loop: Header=BB0_4 Depth=1
	s_or_b64 exec, exec, s[6:7]
	v_add_u32_e32 v6, s23, v17
	v_add_u32_e32 v16, v6, v16
	v_mul_lo_u32 v16, v16, s12
	v_cmp_lt_i32_e64 s[2:3], -1, v6
	v_cmp_gt_i32_e32 vcc, s13, v6
	s_and_saveexec_b64 s[38:39], s[2:3]
	s_cbranch_execnz .LBB0_93
; %bb.89:                               ;   in Loop: Header=BB0_4 Depth=1
	s_or_b64 exec, exec, s[38:39]
	s_and_saveexec_b64 s[38:39], s[2:3]
	s_cbranch_execnz .LBB0_96
.LBB0_90:                               ;   in Loop: Header=BB0_4 Depth=1
	s_or_b64 exec, exec, s[38:39]
	s_and_saveexec_b64 s[38:39], s[2:3]
	s_cbranch_execnz .LBB0_99
.LBB0_91:                               ;   in Loop: Header=BB0_4 Depth=1
	s_or_b64 exec, exec, s[38:39]
	s_and_saveexec_b64 s[38:39], s[2:3]
	s_cbranch_execnz .LBB0_102
.LBB0_92:                               ;   in Loop: Header=BB0_4 Depth=1
	s_or_b64 exec, exec, s[38:39]
	s_and_saveexec_b64 s[6:7], s[2:3]
	s_cbranch_execz .LBB0_3
	s_branch .LBB0_105
.LBB0_93:                               ;   in Loop: Header=BB0_4 Depth=1
	v_cmp_lt_i32_e64 s[4:5], -1, v7
	v_cmp_gt_i32_e64 s[6:7], s12, v7
	s_and_b64 s[4:5], s[4:5], s[6:7]
	s_and_b64 s[4:5], vcc, s[4:5]
	s_and_saveexec_b64 s[6:7], s[4:5]
	s_cbranch_execz .LBB0_95
; %bb.94:                               ;   in Loop: Header=BB0_4 Depth=1
	v_ashrrev_i32_e32 v6, 31, v5
	v_add_u32_e32 v17, v7, v16
	v_lshlrev_b64 v[6:7], 3, v[5:6]
	v_mov_b32_e32 v18, s29
	v_add_co_u32_e64 v6, s[4:5], s28, v6
	v_addc_co_u32_e64 v7, s[4:5], v18, v7, s[4:5]
	v_ashrrev_i32_e32 v18, 31, v17
	v_lshlrev_b64 v[17:18], 3, v[17:18]
	v_mov_b32_e32 v19, s27
	v_add_co_u32_e64 v17, s[4:5], s26, v17
	v_addc_co_u32_e64 v18, s[4:5], v19, v18, s[4:5]
	global_load_dwordx2 v[6:7], v[6:7], off offset:160
	s_nop 0
	global_load_dwordx2 v[17:18], v[17:18], off
	s_waitcnt vmcnt(0)
	v_fma_f64 v[3:4], v[6:7], v[17:18], v[3:4]
.LBB0_95:                               ;   in Loop: Header=BB0_4 Depth=1
	s_or_b64 exec, exec, s[6:7]
	s_or_b64 exec, exec, s[38:39]
	s_and_saveexec_b64 s[38:39], s[2:3]
	s_cbranch_execz .LBB0_90
.LBB0_96:                               ;   in Loop: Header=BB0_4 Depth=1
	v_cmp_lt_i32_e64 s[4:5], -1, v8
	v_cmp_gt_i32_e64 s[6:7], s12, v8
	s_and_b64 s[4:5], s[4:5], s[6:7]
	s_and_b64 s[4:5], vcc, s[4:5]
	s_and_saveexec_b64 s[6:7], s[4:5]
	s_cbranch_execz .LBB0_98
; %bb.97:                               ;   in Loop: Header=BB0_4 Depth=1
	v_ashrrev_i32_e32 v6, 31, v5
	v_lshlrev_b64 v[17:18], 3, v[5:6]
	v_add_u32_e32 v7, v8, v16
	v_mov_b32_e32 v6, s29
	v_add_co_u32_e64 v17, s[4:5], s28, v17
	v_ashrrev_i32_e32 v8, 31, v7
	v_addc_co_u32_e64 v18, s[4:5], v6, v18, s[4:5]
	v_lshlrev_b64 v[6:7], 3, v[7:8]
	v_mov_b32_e32 v8, s27
	v_add_co_u32_e64 v6, s[4:5], s26, v6
	v_addc_co_u32_e64 v7, s[4:5], v8, v7, s[4:5]
	global_load_dwordx2 v[17:18], v[17:18], off offset:168
	s_nop 0
	global_load_dwordx2 v[6:7], v[6:7], off
	s_waitcnt vmcnt(0)
	v_fma_f64 v[3:4], v[17:18], v[6:7], v[3:4]
.LBB0_98:                               ;   in Loop: Header=BB0_4 Depth=1
	s_or_b64 exec, exec, s[6:7]
	s_or_b64 exec, exec, s[38:39]
	s_and_saveexec_b64 s[38:39], s[2:3]
	s_cbranch_execz .LBB0_91
.LBB0_99:                               ;   in Loop: Header=BB0_4 Depth=1
	v_cmp_lt_i32_e64 s[4:5], -1, v13
	v_cmp_gt_i32_e64 s[6:7], s12, v13
	s_and_b64 s[4:5], s[4:5], s[6:7]
	s_and_b64 s[4:5], vcc, s[4:5]
	s_and_saveexec_b64 s[6:7], s[4:5]
	s_cbranch_execz .LBB0_101
; %bb.100:                              ;   in Loop: Header=BB0_4 Depth=1
	v_ashrrev_i32_e32 v6, 31, v5
	v_lshlrev_b64 v[17:18], 3, v[5:6]
	v_add_u32_e32 v7, v13, v16
	v_mov_b32_e32 v6, s29
	v_add_co_u32_e64 v17, s[4:5], s28, v17
	v_ashrrev_i32_e32 v8, 31, v7
	v_addc_co_u32_e64 v18, s[4:5], v6, v18, s[4:5]
	v_lshlrev_b64 v[6:7], 3, v[7:8]
	v_mov_b32_e32 v8, s27
	v_add_co_u32_e64 v6, s[4:5], s26, v6
	v_addc_co_u32_e64 v7, s[4:5], v8, v7, s[4:5]
	global_load_dwordx2 v[17:18], v[17:18], off offset:176
	s_nop 0
	global_load_dwordx2 v[6:7], v[6:7], off
	s_waitcnt vmcnt(0)
	v_fma_f64 v[3:4], v[17:18], v[6:7], v[3:4]
.LBB0_101:                              ;   in Loop: Header=BB0_4 Depth=1
	s_or_b64 exec, exec, s[6:7]
	s_or_b64 exec, exec, s[38:39]
	s_and_saveexec_b64 s[38:39], s[2:3]
	s_cbranch_execz .LBB0_92
.LBB0_102:                              ;   in Loop: Header=BB0_4 Depth=1
	v_cmp_lt_i32_e64 s[4:5], -1, v14
	v_cmp_gt_i32_e64 s[6:7], s12, v14
	s_and_b64 s[4:5], s[4:5], s[6:7]
	s_and_b64 s[4:5], vcc, s[4:5]
	s_and_saveexec_b64 s[6:7], s[4:5]
	s_cbranch_execz .LBB0_104
; %bb.103:                              ;   in Loop: Header=BB0_4 Depth=1
	v_ashrrev_i32_e32 v6, 31, v5
	v_add_u32_e32 v7, v14, v16
	v_lshlrev_b64 v[13:14], 3, v[5:6]
	v_mov_b32_e32 v6, s29
	v_add_co_u32_e64 v13, s[4:5], s28, v13
	v_ashrrev_i32_e32 v8, 31, v7
	v_addc_co_u32_e64 v14, s[4:5], v6, v14, s[4:5]
	v_lshlrev_b64 v[6:7], 3, v[7:8]
	v_mov_b32_e32 v8, s27
	v_add_co_u32_e64 v6, s[4:5], s26, v6
	v_addc_co_u32_e64 v7, s[4:5], v8, v7, s[4:5]
	global_load_dwordx2 v[13:14], v[13:14], off offset:184
	s_nop 0
	global_load_dwordx2 v[6:7], v[6:7], off
	s_waitcnt vmcnt(0)
	v_fma_f64 v[3:4], v[13:14], v[6:7], v[3:4]
.LBB0_104:                              ;   in Loop: Header=BB0_4 Depth=1
	s_or_b64 exec, exec, s[6:7]
	s_or_b64 exec, exec, s[38:39]
	s_and_saveexec_b64 s[6:7], s[2:3]
	s_cbranch_execz .LBB0_3
.LBB0_105:                              ;   in Loop: Header=BB0_4 Depth=1
	v_cmp_lt_i32_e64 s[2:3], -1, v15
	v_cmp_gt_i32_e64 s[4:5], s12, v15
	s_and_b64 s[2:3], s[2:3], s[4:5]
	s_and_b64 s[4:5], vcc, s[2:3]
	s_and_saveexec_b64 s[2:3], s[4:5]
	s_cbranch_execz .LBB0_2
; %bb.106:                              ;   in Loop: Header=BB0_4 Depth=1
	v_ashrrev_i32_e32 v6, 31, v5
	v_lshlrev_b64 v[5:6], 3, v[5:6]
	v_add_u32_e32 v7, v15, v16
	v_mov_b32_e32 v8, s29
	v_add_co_u32_e32 v5, vcc, s28, v5
	v_addc_co_u32_e32 v6, vcc, v8, v6, vcc
	v_ashrrev_i32_e32 v8, 31, v7
	v_lshlrev_b64 v[7:8], 3, v[7:8]
	v_mov_b32_e32 v13, s27
	v_add_co_u32_e32 v7, vcc, s26, v7
	v_addc_co_u32_e32 v8, vcc, v13, v8, vcc
	global_load_dwordx2 v[5:6], v[5:6], off offset:192
	s_nop 0
	global_load_dwordx2 v[7:8], v[7:8], off
	s_waitcnt vmcnt(0)
	v_fma_f64 v[3:4], v[5:6], v[7:8], v[3:4]
	s_branch .LBB0_2
.LBB0_107:
	s_endpgm
	.section	.rodata,"a",@progbits
	.p2align	6, 0x0
	.amdhsa_kernel _ZN2at6native12_GLOBAL__N_131conv_depthwise2d_forward_kernelILi5EdiEEvN5torch10headeronly6detail27GenericPackedTensorAccessorINS5_14TensorAccessorIN3c108ArrayRefIlEEKT0_Lm3ENS4_16DefaultPtrTraitsEiEENS_6detail16IndexBoundsCheckILm4EiEESC_Lm4ESD_iEENS6_INS7_ISA_SB_Lm3ESD_iEESH_SB_Lm4ESD_iEESI_NS6_INS7_ISA_SC_Lm0ESD_iEENSG_ILm1EiEESC_Lm1ESD_iEEbT1_iiiiiiiiiiiiii
		.amdhsa_group_segment_fixed_size 0
		.amdhsa_private_segment_fixed_size 0
		.amdhsa_kernarg_size 456
		.amdhsa_user_sgpr_count 6
		.amdhsa_user_sgpr_private_segment_buffer 1
		.amdhsa_user_sgpr_dispatch_ptr 0
		.amdhsa_user_sgpr_queue_ptr 0
		.amdhsa_user_sgpr_kernarg_segment_ptr 1
		.amdhsa_user_sgpr_dispatch_id 0
		.amdhsa_user_sgpr_flat_scratch_init 0
		.amdhsa_user_sgpr_private_segment_size 0
		.amdhsa_uses_dynamic_stack 0
		.amdhsa_system_sgpr_private_segment_wavefront_offset 0
		.amdhsa_system_sgpr_workgroup_id_x 1
		.amdhsa_system_sgpr_workgroup_id_y 0
		.amdhsa_system_sgpr_workgroup_id_z 0
		.amdhsa_system_sgpr_workgroup_info 0
		.amdhsa_system_vgpr_workitem_id 0
		.amdhsa_next_free_vgpr 23
		.amdhsa_next_free_sgpr 51
		.amdhsa_reserve_vcc 1
		.amdhsa_reserve_flat_scratch 0
		.amdhsa_float_round_mode_32 0
		.amdhsa_float_round_mode_16_64 0
		.amdhsa_float_denorm_mode_32 3
		.amdhsa_float_denorm_mode_16_64 3
		.amdhsa_dx10_clamp 1
		.amdhsa_ieee_mode 1
		.amdhsa_fp16_overflow 0
		.amdhsa_exception_fp_ieee_invalid_op 0
		.amdhsa_exception_fp_denorm_src 0
		.amdhsa_exception_fp_ieee_div_zero 0
		.amdhsa_exception_fp_ieee_overflow 0
		.amdhsa_exception_fp_ieee_underflow 0
		.amdhsa_exception_fp_ieee_inexact 0
		.amdhsa_exception_int_div_zero 0
	.end_amdhsa_kernel
	.section	.text._ZN2at6native12_GLOBAL__N_131conv_depthwise2d_forward_kernelILi5EdiEEvN5torch10headeronly6detail27GenericPackedTensorAccessorINS5_14TensorAccessorIN3c108ArrayRefIlEEKT0_Lm3ENS4_16DefaultPtrTraitsEiEENS_6detail16IndexBoundsCheckILm4EiEESC_Lm4ESD_iEENS6_INS7_ISA_SB_Lm3ESD_iEESH_SB_Lm4ESD_iEESI_NS6_INS7_ISA_SC_Lm0ESD_iEENSG_ILm1EiEESC_Lm1ESD_iEEbT1_iiiiiiiiiiiiii,"axG",@progbits,_ZN2at6native12_GLOBAL__N_131conv_depthwise2d_forward_kernelILi5EdiEEvN5torch10headeronly6detail27GenericPackedTensorAccessorINS5_14TensorAccessorIN3c108ArrayRefIlEEKT0_Lm3ENS4_16DefaultPtrTraitsEiEENS_6detail16IndexBoundsCheckILm4EiEESC_Lm4ESD_iEENS6_INS7_ISA_SB_Lm3ESD_iEESH_SB_Lm4ESD_iEESI_NS6_INS7_ISA_SC_Lm0ESD_iEENSG_ILm1EiEESC_Lm1ESD_iEEbT1_iiiiiiiiiiiiii,comdat
.Lfunc_end0:
	.size	_ZN2at6native12_GLOBAL__N_131conv_depthwise2d_forward_kernelILi5EdiEEvN5torch10headeronly6detail27GenericPackedTensorAccessorINS5_14TensorAccessorIN3c108ArrayRefIlEEKT0_Lm3ENS4_16DefaultPtrTraitsEiEENS_6detail16IndexBoundsCheckILm4EiEESC_Lm4ESD_iEENS6_INS7_ISA_SB_Lm3ESD_iEESH_SB_Lm4ESD_iEESI_NS6_INS7_ISA_SC_Lm0ESD_iEENSG_ILm1EiEESC_Lm1ESD_iEEbT1_iiiiiiiiiiiiii, .Lfunc_end0-_ZN2at6native12_GLOBAL__N_131conv_depthwise2d_forward_kernelILi5EdiEEvN5torch10headeronly6detail27GenericPackedTensorAccessorINS5_14TensorAccessorIN3c108ArrayRefIlEEKT0_Lm3ENS4_16DefaultPtrTraitsEiEENS_6detail16IndexBoundsCheckILm4EiEESC_Lm4ESD_iEENS6_INS7_ISA_SB_Lm3ESD_iEESH_SB_Lm4ESD_iEESI_NS6_INS7_ISA_SC_Lm0ESD_iEENSG_ILm1EiEESC_Lm1ESD_iEEbT1_iiiiiiiiiiiiii
                                        ; -- End function
	.set _ZN2at6native12_GLOBAL__N_131conv_depthwise2d_forward_kernelILi5EdiEEvN5torch10headeronly6detail27GenericPackedTensorAccessorINS5_14TensorAccessorIN3c108ArrayRefIlEEKT0_Lm3ENS4_16DefaultPtrTraitsEiEENS_6detail16IndexBoundsCheckILm4EiEESC_Lm4ESD_iEENS6_INS7_ISA_SB_Lm3ESD_iEESH_SB_Lm4ESD_iEESI_NS6_INS7_ISA_SC_Lm0ESD_iEENSG_ILm1EiEESC_Lm1ESD_iEEbT1_iiiiiiiiiiiiii.num_vgpr, 23
	.set _ZN2at6native12_GLOBAL__N_131conv_depthwise2d_forward_kernelILi5EdiEEvN5torch10headeronly6detail27GenericPackedTensorAccessorINS5_14TensorAccessorIN3c108ArrayRefIlEEKT0_Lm3ENS4_16DefaultPtrTraitsEiEENS_6detail16IndexBoundsCheckILm4EiEESC_Lm4ESD_iEENS6_INS7_ISA_SB_Lm3ESD_iEESH_SB_Lm4ESD_iEESI_NS6_INS7_ISA_SC_Lm0ESD_iEENSG_ILm1EiEESC_Lm1ESD_iEEbT1_iiiiiiiiiiiiii.num_agpr, 0
	.set _ZN2at6native12_GLOBAL__N_131conv_depthwise2d_forward_kernelILi5EdiEEvN5torch10headeronly6detail27GenericPackedTensorAccessorINS5_14TensorAccessorIN3c108ArrayRefIlEEKT0_Lm3ENS4_16DefaultPtrTraitsEiEENS_6detail16IndexBoundsCheckILm4EiEESC_Lm4ESD_iEENS6_INS7_ISA_SB_Lm3ESD_iEESH_SB_Lm4ESD_iEESI_NS6_INS7_ISA_SC_Lm0ESD_iEENSG_ILm1EiEESC_Lm1ESD_iEEbT1_iiiiiiiiiiiiii.numbered_sgpr, 51
	.set _ZN2at6native12_GLOBAL__N_131conv_depthwise2d_forward_kernelILi5EdiEEvN5torch10headeronly6detail27GenericPackedTensorAccessorINS5_14TensorAccessorIN3c108ArrayRefIlEEKT0_Lm3ENS4_16DefaultPtrTraitsEiEENS_6detail16IndexBoundsCheckILm4EiEESC_Lm4ESD_iEENS6_INS7_ISA_SB_Lm3ESD_iEESH_SB_Lm4ESD_iEESI_NS6_INS7_ISA_SC_Lm0ESD_iEENSG_ILm1EiEESC_Lm1ESD_iEEbT1_iiiiiiiiiiiiii.num_named_barrier, 0
	.set _ZN2at6native12_GLOBAL__N_131conv_depthwise2d_forward_kernelILi5EdiEEvN5torch10headeronly6detail27GenericPackedTensorAccessorINS5_14TensorAccessorIN3c108ArrayRefIlEEKT0_Lm3ENS4_16DefaultPtrTraitsEiEENS_6detail16IndexBoundsCheckILm4EiEESC_Lm4ESD_iEENS6_INS7_ISA_SB_Lm3ESD_iEESH_SB_Lm4ESD_iEESI_NS6_INS7_ISA_SC_Lm0ESD_iEENSG_ILm1EiEESC_Lm1ESD_iEEbT1_iiiiiiiiiiiiii.private_seg_size, 0
	.set _ZN2at6native12_GLOBAL__N_131conv_depthwise2d_forward_kernelILi5EdiEEvN5torch10headeronly6detail27GenericPackedTensorAccessorINS5_14TensorAccessorIN3c108ArrayRefIlEEKT0_Lm3ENS4_16DefaultPtrTraitsEiEENS_6detail16IndexBoundsCheckILm4EiEESC_Lm4ESD_iEENS6_INS7_ISA_SB_Lm3ESD_iEESH_SB_Lm4ESD_iEESI_NS6_INS7_ISA_SC_Lm0ESD_iEENSG_ILm1EiEESC_Lm1ESD_iEEbT1_iiiiiiiiiiiiii.uses_vcc, 1
	.set _ZN2at6native12_GLOBAL__N_131conv_depthwise2d_forward_kernelILi5EdiEEvN5torch10headeronly6detail27GenericPackedTensorAccessorINS5_14TensorAccessorIN3c108ArrayRefIlEEKT0_Lm3ENS4_16DefaultPtrTraitsEiEENS_6detail16IndexBoundsCheckILm4EiEESC_Lm4ESD_iEENS6_INS7_ISA_SB_Lm3ESD_iEESH_SB_Lm4ESD_iEESI_NS6_INS7_ISA_SC_Lm0ESD_iEENSG_ILm1EiEESC_Lm1ESD_iEEbT1_iiiiiiiiiiiiii.uses_flat_scratch, 0
	.set _ZN2at6native12_GLOBAL__N_131conv_depthwise2d_forward_kernelILi5EdiEEvN5torch10headeronly6detail27GenericPackedTensorAccessorINS5_14TensorAccessorIN3c108ArrayRefIlEEKT0_Lm3ENS4_16DefaultPtrTraitsEiEENS_6detail16IndexBoundsCheckILm4EiEESC_Lm4ESD_iEENS6_INS7_ISA_SB_Lm3ESD_iEESH_SB_Lm4ESD_iEESI_NS6_INS7_ISA_SC_Lm0ESD_iEENSG_ILm1EiEESC_Lm1ESD_iEEbT1_iiiiiiiiiiiiii.has_dyn_sized_stack, 0
	.set _ZN2at6native12_GLOBAL__N_131conv_depthwise2d_forward_kernelILi5EdiEEvN5torch10headeronly6detail27GenericPackedTensorAccessorINS5_14TensorAccessorIN3c108ArrayRefIlEEKT0_Lm3ENS4_16DefaultPtrTraitsEiEENS_6detail16IndexBoundsCheckILm4EiEESC_Lm4ESD_iEENS6_INS7_ISA_SB_Lm3ESD_iEESH_SB_Lm4ESD_iEESI_NS6_INS7_ISA_SC_Lm0ESD_iEENSG_ILm1EiEESC_Lm1ESD_iEEbT1_iiiiiiiiiiiiii.has_recursion, 0
	.set _ZN2at6native12_GLOBAL__N_131conv_depthwise2d_forward_kernelILi5EdiEEvN5torch10headeronly6detail27GenericPackedTensorAccessorINS5_14TensorAccessorIN3c108ArrayRefIlEEKT0_Lm3ENS4_16DefaultPtrTraitsEiEENS_6detail16IndexBoundsCheckILm4EiEESC_Lm4ESD_iEENS6_INS7_ISA_SB_Lm3ESD_iEESH_SB_Lm4ESD_iEESI_NS6_INS7_ISA_SC_Lm0ESD_iEENSG_ILm1EiEESC_Lm1ESD_iEEbT1_iiiiiiiiiiiiii.has_indirect_call, 0
	.section	.AMDGPU.csdata,"",@progbits
; Kernel info:
; codeLenInByte = 4960
; TotalNumSgprs: 55
; NumVgprs: 23
; ScratchSize: 0
; MemoryBound: 0
; FloatMode: 240
; IeeeMode: 1
; LDSByteSize: 0 bytes/workgroup (compile time only)
; SGPRBlocks: 6
; VGPRBlocks: 5
; NumSGPRsForWavesPerEU: 55
; NumVGPRsForWavesPerEU: 23
; Occupancy: 10
; WaveLimiterHint : 0
; COMPUTE_PGM_RSRC2:SCRATCH_EN: 0
; COMPUTE_PGM_RSRC2:USER_SGPR: 6
; COMPUTE_PGM_RSRC2:TRAP_HANDLER: 0
; COMPUTE_PGM_RSRC2:TGID_X_EN: 1
; COMPUTE_PGM_RSRC2:TGID_Y_EN: 0
; COMPUTE_PGM_RSRC2:TGID_Z_EN: 0
; COMPUTE_PGM_RSRC2:TIDIG_COMP_CNT: 0
	.section	.text._ZN2at6native12_GLOBAL__N_131conv_depthwise2d_forward_kernelILi3EdiEEvN5torch10headeronly6detail27GenericPackedTensorAccessorINS5_14TensorAccessorIN3c108ArrayRefIlEEKT0_Lm3ENS4_16DefaultPtrTraitsEiEENS_6detail16IndexBoundsCheckILm4EiEESC_Lm4ESD_iEENS6_INS7_ISA_SB_Lm3ESD_iEESH_SB_Lm4ESD_iEESI_NS6_INS7_ISA_SC_Lm0ESD_iEENSG_ILm1EiEESC_Lm1ESD_iEEbT1_iiiiiiiiiiiiii,"axG",@progbits,_ZN2at6native12_GLOBAL__N_131conv_depthwise2d_forward_kernelILi3EdiEEvN5torch10headeronly6detail27GenericPackedTensorAccessorINS5_14TensorAccessorIN3c108ArrayRefIlEEKT0_Lm3ENS4_16DefaultPtrTraitsEiEENS_6detail16IndexBoundsCheckILm4EiEESC_Lm4ESD_iEENS6_INS7_ISA_SB_Lm3ESD_iEESH_SB_Lm4ESD_iEESI_NS6_INS7_ISA_SC_Lm0ESD_iEENSG_ILm1EiEESC_Lm1ESD_iEEbT1_iiiiiiiiiiiiii,comdat
	.globl	_ZN2at6native12_GLOBAL__N_131conv_depthwise2d_forward_kernelILi3EdiEEvN5torch10headeronly6detail27GenericPackedTensorAccessorINS5_14TensorAccessorIN3c108ArrayRefIlEEKT0_Lm3ENS4_16DefaultPtrTraitsEiEENS_6detail16IndexBoundsCheckILm4EiEESC_Lm4ESD_iEENS6_INS7_ISA_SB_Lm3ESD_iEESH_SB_Lm4ESD_iEESI_NS6_INS7_ISA_SC_Lm0ESD_iEENSG_ILm1EiEESC_Lm1ESD_iEEbT1_iiiiiiiiiiiiii ; -- Begin function _ZN2at6native12_GLOBAL__N_131conv_depthwise2d_forward_kernelILi3EdiEEvN5torch10headeronly6detail27GenericPackedTensorAccessorINS5_14TensorAccessorIN3c108ArrayRefIlEEKT0_Lm3ENS4_16DefaultPtrTraitsEiEENS_6detail16IndexBoundsCheckILm4EiEESC_Lm4ESD_iEENS6_INS7_ISA_SB_Lm3ESD_iEESH_SB_Lm4ESD_iEESI_NS6_INS7_ISA_SC_Lm0ESD_iEENSG_ILm1EiEESC_Lm1ESD_iEEbT1_iiiiiiiiiiiiii
	.p2align	8
	.type	_ZN2at6native12_GLOBAL__N_131conv_depthwise2d_forward_kernelILi3EdiEEvN5torch10headeronly6detail27GenericPackedTensorAccessorINS5_14TensorAccessorIN3c108ArrayRefIlEEKT0_Lm3ENS4_16DefaultPtrTraitsEiEENS_6detail16IndexBoundsCheckILm4EiEESC_Lm4ESD_iEENS6_INS7_ISA_SB_Lm3ESD_iEESH_SB_Lm4ESD_iEESI_NS6_INS7_ISA_SC_Lm0ESD_iEENSG_ILm1EiEESC_Lm1ESD_iEEbT1_iiiiiiiiiiiiii,@function
_ZN2at6native12_GLOBAL__N_131conv_depthwise2d_forward_kernelILi3EdiEEvN5torch10headeronly6detail27GenericPackedTensorAccessorINS5_14TensorAccessorIN3c108ArrayRefIlEEKT0_Lm3ENS4_16DefaultPtrTraitsEiEENS_6detail16IndexBoundsCheckILm4EiEESC_Lm4ESD_iEENS6_INS7_ISA_SB_Lm3ESD_iEESH_SB_Lm4ESD_iEESI_NS6_INS7_ISA_SC_Lm0ESD_iEENSG_ILm1EiEESC_Lm1ESD_iEEbT1_iiiiiiiiiiiiii: ; @_ZN2at6native12_GLOBAL__N_131conv_depthwise2d_forward_kernelILi3EdiEEvN5torch10headeronly6detail27GenericPackedTensorAccessorINS5_14TensorAccessorIN3c108ArrayRefIlEEKT0_Lm3ENS4_16DefaultPtrTraitsEiEENS_6detail16IndexBoundsCheckILm4EiEESC_Lm4ESD_iEENS6_INS7_ISA_SB_Lm3ESD_iEESH_SB_Lm4ESD_iEESI_NS6_INS7_ISA_SC_Lm0ESD_iEENSG_ILm1EiEESC_Lm1ESD_iEEbT1_iiiiiiiiiiiiii
; %bb.0:
	s_load_dword s0, s[4:5], 0xd4
	s_load_dwordx16 s[8:23], s[4:5], 0x88
	s_add_u32 s2, s4, 0xc8
	s_addc_u32 s3, s5, 0
	v_mov_b32_e32 v9, 0
	s_waitcnt lgkmcnt(0)
	s_and_b32 s7, s0, 0xffff
	s_mul_hi_u32 s33, s7, s6
	s_mul_i32 s40, s7, s6
	v_mov_b32_e32 v2, s33
	v_add_co_u32_e32 v1, vcc, s40, v0
	v_addc_co_u32_e32 v2, vcc, 0, v2, vcc
	s_ashr_i32 s25, s9, 31
	s_mov_b32 s24, s9
	v_cmp_gt_i64_e32 vcc, s[24:25], v[1:2]
	s_and_saveexec_b64 s[0:1], vcc
	s_cbranch_execz .LBB1_43
; %bb.1:
	s_bitcmp1_b32 s8, 0
	s_cselect_b64 s[8:9], -1, 0
	s_cmp_lg_u32 s11, 1
	s_cselect_b64 s[0:1], -1, 0
	s_abs_i32 s41, s14
	v_cvt_f32_u32_e32 v3, s41
	s_abs_i32 s43, s15
	v_cvt_f32_u32_e32 v4, s43
	s_load_dwordx2 s[26:27], s[4:5], 0x0
	s_load_dwordx2 s[34:35], s[4:5], 0x28
	;; [unrolled: 1-line block ×4, first 2 shown]
	s_load_dword s6, s[2:3], 0x0
	v_rcp_iflag_f32_e32 v3, v3
	s_sub_i32 s2, 0, s41
	v_rcp_iflag_f32_e32 v4, v4
	s_abs_i32 s44, s10
	v_mul_f32_e32 v3, 0x4f7ffffe, v3
	v_cvt_u32_f32_e32 v3, v3
	v_cvt_f32_u32_e32 v6, s44
	v_mul_f32_e32 v4, 0x4f7ffffe, v4
	v_cvt_u32_f32_e32 v4, v4
	v_mul_lo_u32 v5, s2, v3
	v_rcp_iflag_f32_e32 v6, v6
	s_sub_i32 s2, 0, s43
	s_abs_i32 s46, s11
	v_mul_hi_u32 v5, v3, v5
	v_mul_lo_u32 v7, s2, v4
	s_sub_i32 s2, 0, s44
	s_ashr_i32 s48, s10, 31
	v_add_u32_e32 v10, v3, v5
	v_mul_f32_e32 v5, 0x4f7ffffe, v6
	v_cvt_f32_u32_e32 v6, s46
	v_mul_hi_u32 v3, v4, v7
	v_cvt_u32_f32_e32 v5, v5
	s_ashr_i32 s11, s11, 31
	v_rcp_iflag_f32_e32 v6, v6
	v_add_u32_e32 v11, v4, v3
	v_mul_lo_u32 v7, s2, v5
	s_sub_i32 s2, 0, s46
	v_mul_f32_e32 v4, 0x4f7ffffe, v6
	v_cvt_u32_f32_e32 v4, v4
	s_mul_i32 s42, s17, s16
	s_waitcnt lgkmcnt(0)
	s_mul_i32 s16, s6, s7
	s_ashr_i32 s45, s14, 31
	v_readfirstlane_b32 s3, v4
	s_mul_i32 s2, s2, s3
	s_mul_hi_u32 s2, s3, s2
	s_add_i32 s49, s3, s2
	s_mul_hi_u32 s3, s44, s49
	s_mul_i32 s4, s3, s46
	s_sub_i32 s4, s44, s4
	s_ashr_i32 s47, s15, 31
	s_xor_b32 s2, s48, s11
	s_add_i32 s5, s3, 1
	s_sub_i32 s6, s4, s46
	v_mul_hi_u32 v3, v5, v7
	s_cmp_ge_u32 s4, s46
	s_cselect_b32 s3, s5, s3
	s_cselect_b32 s4, s6, s4
	s_add_i32 s5, s3, 1
	v_lshlrev_b64 v[1:2], 3, v[1:2]
	s_cmp_ge_u32 s4, s46
	v_add_u32_e32 v12, v5, v3
	s_cselect_b32 s3, s5, s3
	v_mov_b32_e32 v3, s35
	v_add_co_u32_e32 v1, vcc, s34, v1
	s_mov_b32 s17, 0
	s_xor_b32 s3, s3, s2
	v_addc_co_u32_e32 v2, vcc, v3, v2, vcc
	v_cndmask_b32_e64 v3, 0, 1, s[0:1]
	s_sub_i32 s50, s3, s2
	s_lshl_b64 s[34:35], s[16:17], 3
	s_sub_i32 s14, 0, s14
	s_mov_b64 s[36:37], 0
	v_cmp_ne_u32_e64 s[0:1], 1, v3
	s_branch .LBB1_4
.LBB1_2:                                ;   in Loop: Header=BB1_4 Depth=1
	s_or_b64 exec, exec, s[2:3]
.LBB1_3:                                ;   in Loop: Header=BB1_4 Depth=1
	s_or_b64 exec, exec, s[6:7]
	v_add_co_u32_e32 v0, vcc, s16, v0
	v_addc_co_u32_e32 v9, vcc, 0, v9, vcc
	s_waitcnt vmcnt(0)
	global_store_dwordx2 v[1:2], v[3:4], off
	v_mov_b32_e32 v4, s33
	v_add_co_u32_e32 v3, vcc, s40, v0
	v_addc_co_u32_e32 v4, vcc, v4, v9, vcc
	v_cmp_le_i64_e32 vcc, s[24:25], v[3:4]
	v_mov_b32_e32 v3, s35
	s_or_b64 s[36:37], vcc, s[36:37]
	v_add_co_u32_e32 v1, vcc, s34, v1
	v_addc_co_u32_e32 v2, vcc, v2, v3, vcc
	s_andn2_b64 exec, exec, s[36:37]
	s_cbranch_execz .LBB1_43
.LBB1_4:                                ; =>This Inner Loop Header: Depth=1
	v_add_co_u32_e32 v5, vcc, s40, v0
	v_sub_u32_e32 v3, 0, v5
	v_max_i32_e32 v3, v5, v3
	v_mul_hi_u32 v4, v3, v10
	v_ashrrev_i32_e32 v7, 31, v5
	v_xor_b32_e32 v7, s45, v7
	s_mov_b32 s2, s10
	v_mul_lo_u32 v6, v4, s41
	v_add_u32_e32 v8, 1, v4
	v_sub_u32_e32 v3, v3, v6
	v_cmp_le_u32_e32 vcc, s41, v3
	v_subrev_u32_e32 v6, s41, v3
	v_cndmask_b32_e32 v4, v4, v8, vcc
	v_cndmask_b32_e32 v3, v3, v6, vcc
	v_add_u32_e32 v6, 1, v4
	v_cmp_le_u32_e32 vcc, s41, v3
	v_cndmask_b32_e32 v3, v4, v6, vcc
	v_xor_b32_e32 v3, v3, v7
	v_sub_u32_e32 v13, v3, v7
	v_sub_u32_e32 v3, 0, v13
	v_max_i32_e32 v3, v13, v3
	v_mul_hi_u32 v4, v3, v11
	v_ashrrev_i32_e32 v7, 31, v13
	v_xor_b32_e32 v7, s47, v7
	v_mul_lo_u32 v6, v4, s43
	v_add_u32_e32 v8, 1, v4
	v_sub_u32_e32 v3, v3, v6
	v_cmp_le_u32_e32 vcc, s43, v3
	v_subrev_u32_e32 v6, s43, v3
	v_cndmask_b32_e32 v4, v4, v8, vcc
	v_cndmask_b32_e32 v3, v3, v6, vcc
	v_add_u32_e32 v6, 1, v4
	v_cmp_le_u32_e32 vcc, s43, v3
	v_cndmask_b32_e32 v3, v4, v6, vcc
	v_xor_b32_e32 v3, v3, v7
	v_sub_u32_e32 v14, v3, v7
	v_sub_u32_e32 v3, 0, v14
	v_max_i32_e32 v3, v14, v3
	v_mul_hi_u32 v4, v3, v12
	v_ashrrev_i32_e32 v7, 31, v14
	v_xor_b32_e32 v7, s48, v7
	v_mul_lo_u32 v6, v4, s44
	v_add_u32_e32 v8, 1, v4
	v_sub_u32_e32 v3, v3, v6
	v_cmp_le_u32_e32 vcc, s44, v3
	v_subrev_u32_e32 v6, s44, v3
	v_cndmask_b32_e32 v4, v4, v8, vcc
	v_cndmask_b32_e32 v3, v3, v6, vcc
	v_add_u32_e32 v6, 1, v4
	v_cmp_le_u32_e32 vcc, s44, v3
	v_cndmask_b32_e32 v3, v4, v6, vcc
	v_xor_b32_e32 v3, v3, v7
	v_sub_u32_e32 v15, v3, v7
	v_mul_lo_u32 v3, v15, s10
	s_and_b64 vcc, exec, s[0:1]
	v_sub_u32_e32 v6, v14, v3
	v_ashrrev_i32_e32 v7, 31, v6
	v_mov_b32_e32 v8, v6
	s_cbranch_vccnz .LBB1_6
; %bb.5:                                ;   in Loop: Header=BB1_4 Depth=1
	v_sub_u32_e32 v3, 0, v6
	v_max_i32_e32 v3, v6, v3
	v_mul_hi_u32 v4, v3, s49
	v_xor_b32_e32 v16, s11, v7
	s_mov_b32 s2, s50
	v_mul_lo_u32 v8, v4, s46
	v_add_u32_e32 v17, 1, v4
	v_sub_u32_e32 v3, v3, v8
	v_cmp_le_u32_e32 vcc, s46, v3
	v_subrev_u32_e32 v8, s46, v3
	v_cndmask_b32_e32 v4, v4, v17, vcc
	v_cndmask_b32_e32 v3, v3, v8, vcc
	v_add_u32_e32 v8, 1, v4
	v_cmp_le_u32_e32 vcc, s46, v3
	v_cndmask_b32_e32 v3, v4, v8, vcc
	v_xor_b32_e32 v3, v3, v16
	v_sub_u32_e32 v8, v3, v16
.LBB1_6:                                ;   in Loop: Header=BB1_4 Depth=1
	v_mov_b32_e32 v3, 0
	v_mov_b32_e32 v4, 0
	s_andn2_b64 vcc, exec, s[8:9]
	s_cbranch_vccnz .LBB1_8
; %bb.7:                                ;   in Loop: Header=BB1_4 Depth=1
	v_lshlrev_b64 v[3:4], 3, v[6:7]
	v_mov_b32_e32 v7, s31
	v_add_co_u32_e32 v3, vcc, s30, v3
	v_addc_co_u32_e32 v4, vcc, v7, v4, vcc
	global_load_dwordx2 v[3:4], v[3:4], off
.LBB1_8:                                ;   in Loop: Header=BB1_4 Depth=1
	v_mul_lo_u32 v14, v14, s15
	v_mad_u64_u32 v[7:8], s[2:3], s2, v15, v[8:9]
	v_mad_u64_u32 v[15:16], s[2:3], s14, v13, v[5:6]
	v_sub_u32_e32 v5, v13, v14
	v_mul_lo_u32 v8, v5, s19
	v_mul_lo_u32 v14, v7, s13
	;; [unrolled: 1-line block ×4, first 2 shown]
	v_subrev_u32_e32 v15, s21, v8
	v_add_u32_e32 v7, v15, v14
	v_mul_lo_u32 v16, v7, s12
	v_subrev_u32_e32 v7, s20, v6
	v_cmp_lt_i32_e64 s[2:3], -1, v15
	v_cmp_gt_i32_e32 vcc, s13, v15
	s_and_saveexec_b64 s[38:39], s[2:3]
	s_cbranch_execnz .LBB1_11
; %bb.9:                                ;   in Loop: Header=BB1_4 Depth=1
	s_or_b64 exec, exec, s[38:39]
	v_add_u32_e32 v8, s22, v7
	s_and_saveexec_b64 s[38:39], s[2:3]
	s_cbranch_execnz .LBB1_14
.LBB1_10:                               ;   in Loop: Header=BB1_4 Depth=1
	s_or_b64 exec, exec, s[38:39]
	v_add_u32_e32 v13, s22, v8
	s_and_saveexec_b64 s[6:7], s[2:3]
	s_cbranch_execnz .LBB1_17
	s_branch .LBB1_20
.LBB1_11:                               ;   in Loop: Header=BB1_4 Depth=1
	v_cmp_lt_i32_e64 s[4:5], -1, v7
	v_cmp_gt_i32_e64 s[6:7], s12, v7
	s_and_b64 s[4:5], s[4:5], s[6:7]
	s_and_b64 s[4:5], vcc, s[4:5]
	s_and_saveexec_b64 s[6:7], s[4:5]
	s_cbranch_execz .LBB1_13
; %bb.12:                               ;   in Loop: Header=BB1_4 Depth=1
	v_ashrrev_i32_e32 v6, 31, v5
	v_lshlrev_b64 v[18:19], 3, v[5:6]
	v_mov_b32_e32 v6, s29
	v_add_co_u32_e64 v18, s[4:5], s28, v18
	v_add_u32_e32 v17, v7, v16
	v_addc_co_u32_e64 v19, s[4:5], v6, v19, s[4:5]
	global_load_dwordx2 v[19:20], v[18:19], off
	v_ashrrev_i32_e32 v18, 31, v17
	v_lshlrev_b64 v[17:18], 3, v[17:18]
	v_mov_b32_e32 v6, s27
	v_add_co_u32_e64 v17, s[4:5], s26, v17
	v_addc_co_u32_e64 v18, s[4:5], v6, v18, s[4:5]
	global_load_dwordx2 v[17:18], v[17:18], off
	s_waitcnt vmcnt(0)
	v_fma_f64 v[3:4], v[19:20], v[17:18], v[3:4]
.LBB1_13:                               ;   in Loop: Header=BB1_4 Depth=1
	s_or_b64 exec, exec, s[6:7]
	s_or_b64 exec, exec, s[38:39]
	v_add_u32_e32 v8, s22, v7
	s_and_saveexec_b64 s[38:39], s[2:3]
	s_cbranch_execz .LBB1_10
.LBB1_14:                               ;   in Loop: Header=BB1_4 Depth=1
	v_cmp_lt_i32_e64 s[4:5], -1, v8
	v_cmp_gt_i32_e64 s[6:7], s12, v8
	s_and_b64 s[4:5], s[4:5], s[6:7]
	s_and_b64 s[4:5], vcc, s[4:5]
	s_and_saveexec_b64 s[6:7], s[4:5]
	s_cbranch_execz .LBB1_16
; %bb.15:                               ;   in Loop: Header=BB1_4 Depth=1
	v_ashrrev_i32_e32 v6, 31, v5
	v_lshlrev_b64 v[18:19], 3, v[5:6]
	v_mov_b32_e32 v6, s29
	v_add_co_u32_e64 v18, s[4:5], s28, v18
	v_add_u32_e32 v17, v8, v16
	v_addc_co_u32_e64 v19, s[4:5], v6, v19, s[4:5]
	global_load_dwordx2 v[19:20], v[18:19], off offset:8
	v_ashrrev_i32_e32 v18, 31, v17
	v_lshlrev_b64 v[17:18], 3, v[17:18]
	v_mov_b32_e32 v6, s27
	v_add_co_u32_e64 v17, s[4:5], s26, v17
	v_addc_co_u32_e64 v18, s[4:5], v6, v18, s[4:5]
	global_load_dwordx2 v[17:18], v[17:18], off
	s_waitcnt vmcnt(0)
	v_fma_f64 v[3:4], v[19:20], v[17:18], v[3:4]
.LBB1_16:                               ;   in Loop: Header=BB1_4 Depth=1
	s_or_b64 exec, exec, s[6:7]
	s_or_b64 exec, exec, s[38:39]
	v_add_u32_e32 v13, s22, v8
	s_and_saveexec_b64 s[6:7], s[2:3]
	s_cbranch_execz .LBB1_20
.LBB1_17:                               ;   in Loop: Header=BB1_4 Depth=1
	v_cmp_lt_i32_e64 s[2:3], -1, v13
	v_cmp_gt_i32_e64 s[4:5], s12, v13
	s_and_b64 s[2:3], s[2:3], s[4:5]
	s_and_b64 s[4:5], vcc, s[2:3]
	s_and_saveexec_b64 s[2:3], s[4:5]
	s_cbranch_execz .LBB1_19
; %bb.18:                               ;   in Loop: Header=BB1_4 Depth=1
	v_ashrrev_i32_e32 v6, 31, v5
	v_lshlrev_b64 v[17:18], 3, v[5:6]
	v_mov_b32_e32 v6, s29
	v_add_co_u32_e32 v17, vcc, s28, v17
	v_add_u32_e32 v16, v13, v16
	v_addc_co_u32_e32 v18, vcc, v6, v18, vcc
	global_load_dwordx2 v[18:19], v[17:18], off offset:16
	v_ashrrev_i32_e32 v17, 31, v16
	v_lshlrev_b64 v[16:17], 3, v[16:17]
	v_mov_b32_e32 v6, s27
	v_add_co_u32_e32 v16, vcc, s26, v16
	v_addc_co_u32_e32 v17, vcc, v6, v17, vcc
	global_load_dwordx2 v[16:17], v[16:17], off
	s_waitcnt vmcnt(0)
	v_fma_f64 v[3:4], v[18:19], v[16:17], v[3:4]
.LBB1_19:                               ;   in Loop: Header=BB1_4 Depth=1
	s_or_b64 exec, exec, s[2:3]
.LBB1_20:                               ;   in Loop: Header=BB1_4 Depth=1
	s_or_b64 exec, exec, s[6:7]
	v_add_u32_e32 v15, s23, v15
	v_add_u32_e32 v6, v15, v14
	v_mul_lo_u32 v16, v6, s12
	v_cmp_lt_i32_e64 s[2:3], -1, v15
	v_cmp_gt_i32_e32 vcc, s13, v15
	s_and_saveexec_b64 s[38:39], s[2:3]
	s_cbranch_execnz .LBB1_23
; %bb.21:                               ;   in Loop: Header=BB1_4 Depth=1
	s_or_b64 exec, exec, s[38:39]
	s_and_saveexec_b64 s[38:39], s[2:3]
	s_cbranch_execnz .LBB1_26
.LBB1_22:                               ;   in Loop: Header=BB1_4 Depth=1
	s_or_b64 exec, exec, s[38:39]
	s_and_saveexec_b64 s[6:7], s[2:3]
	s_cbranch_execnz .LBB1_29
	s_branch .LBB1_32
.LBB1_23:                               ;   in Loop: Header=BB1_4 Depth=1
	v_cmp_lt_i32_e64 s[4:5], -1, v7
	v_cmp_gt_i32_e64 s[6:7], s12, v7
	s_and_b64 s[4:5], s[4:5], s[6:7]
	s_and_b64 s[4:5], vcc, s[4:5]
	s_and_saveexec_b64 s[6:7], s[4:5]
	s_cbranch_execz .LBB1_25
; %bb.24:                               ;   in Loop: Header=BB1_4 Depth=1
	v_ashrrev_i32_e32 v6, 31, v5
	v_lshlrev_b64 v[18:19], 3, v[5:6]
	v_mov_b32_e32 v6, s29
	v_add_co_u32_e64 v18, s[4:5], s28, v18
	v_add_u32_e32 v17, v7, v16
	v_addc_co_u32_e64 v19, s[4:5], v6, v19, s[4:5]
	global_load_dwordx2 v[19:20], v[18:19], off offset:24
	v_ashrrev_i32_e32 v18, 31, v17
	v_lshlrev_b64 v[17:18], 3, v[17:18]
	v_mov_b32_e32 v6, s27
	v_add_co_u32_e64 v17, s[4:5], s26, v17
	v_addc_co_u32_e64 v18, s[4:5], v6, v18, s[4:5]
	global_load_dwordx2 v[17:18], v[17:18], off
	s_waitcnt vmcnt(0)
	v_fma_f64 v[3:4], v[19:20], v[17:18], v[3:4]
.LBB1_25:                               ;   in Loop: Header=BB1_4 Depth=1
	s_or_b64 exec, exec, s[6:7]
	s_or_b64 exec, exec, s[38:39]
	s_and_saveexec_b64 s[38:39], s[2:3]
	s_cbranch_execz .LBB1_22
.LBB1_26:                               ;   in Loop: Header=BB1_4 Depth=1
	v_cmp_lt_i32_e64 s[4:5], -1, v8
	v_cmp_gt_i32_e64 s[6:7], s12, v8
	s_and_b64 s[4:5], s[4:5], s[6:7]
	s_and_b64 s[4:5], vcc, s[4:5]
	s_and_saveexec_b64 s[6:7], s[4:5]
	s_cbranch_execz .LBB1_28
; %bb.27:                               ;   in Loop: Header=BB1_4 Depth=1
	v_ashrrev_i32_e32 v6, 31, v5
	v_lshlrev_b64 v[18:19], 3, v[5:6]
	v_mov_b32_e32 v6, s29
	v_add_co_u32_e64 v18, s[4:5], s28, v18
	v_add_u32_e32 v17, v8, v16
	v_addc_co_u32_e64 v19, s[4:5], v6, v19, s[4:5]
	global_load_dwordx2 v[19:20], v[18:19], off offset:32
	v_ashrrev_i32_e32 v18, 31, v17
	v_lshlrev_b64 v[17:18], 3, v[17:18]
	v_mov_b32_e32 v6, s27
	v_add_co_u32_e64 v17, s[4:5], s26, v17
	v_addc_co_u32_e64 v18, s[4:5], v6, v18, s[4:5]
	global_load_dwordx2 v[17:18], v[17:18], off
	s_waitcnt vmcnt(0)
	v_fma_f64 v[3:4], v[19:20], v[17:18], v[3:4]
.LBB1_28:                               ;   in Loop: Header=BB1_4 Depth=1
	s_or_b64 exec, exec, s[6:7]
	s_or_b64 exec, exec, s[38:39]
	s_and_saveexec_b64 s[6:7], s[2:3]
	s_cbranch_execz .LBB1_32
.LBB1_29:                               ;   in Loop: Header=BB1_4 Depth=1
	v_cmp_lt_i32_e64 s[2:3], -1, v13
	v_cmp_gt_i32_e64 s[4:5], s12, v13
	s_and_b64 s[2:3], s[2:3], s[4:5]
	s_and_b64 s[4:5], vcc, s[2:3]
	s_and_saveexec_b64 s[2:3], s[4:5]
	s_cbranch_execz .LBB1_31
; %bb.30:                               ;   in Loop: Header=BB1_4 Depth=1
	v_ashrrev_i32_e32 v6, 31, v5
	v_lshlrev_b64 v[17:18], 3, v[5:6]
	v_mov_b32_e32 v6, s29
	v_add_co_u32_e32 v17, vcc, s28, v17
	v_add_u32_e32 v16, v13, v16
	v_addc_co_u32_e32 v18, vcc, v6, v18, vcc
	global_load_dwordx2 v[18:19], v[17:18], off offset:40
	v_ashrrev_i32_e32 v17, 31, v16
	v_lshlrev_b64 v[16:17], 3, v[16:17]
	v_mov_b32_e32 v6, s27
	v_add_co_u32_e32 v16, vcc, s26, v16
	v_addc_co_u32_e32 v17, vcc, v6, v17, vcc
	global_load_dwordx2 v[16:17], v[16:17], off
	s_waitcnt vmcnt(0)
	v_fma_f64 v[3:4], v[18:19], v[16:17], v[3:4]
.LBB1_31:                               ;   in Loop: Header=BB1_4 Depth=1
	s_or_b64 exec, exec, s[2:3]
.LBB1_32:                               ;   in Loop: Header=BB1_4 Depth=1
	s_or_b64 exec, exec, s[6:7]
	v_add_u32_e32 v6, s23, v15
	v_add_u32_e32 v14, v6, v14
	v_mul_lo_u32 v14, v14, s12
	v_cmp_lt_i32_e64 s[2:3], -1, v6
	v_cmp_gt_i32_e32 vcc, s13, v6
	s_and_saveexec_b64 s[38:39], s[2:3]
	s_cbranch_execnz .LBB1_35
; %bb.33:                               ;   in Loop: Header=BB1_4 Depth=1
	s_or_b64 exec, exec, s[38:39]
	s_and_saveexec_b64 s[38:39], s[2:3]
	s_cbranch_execnz .LBB1_38
.LBB1_34:                               ;   in Loop: Header=BB1_4 Depth=1
	s_or_b64 exec, exec, s[38:39]
	s_and_saveexec_b64 s[6:7], s[2:3]
	s_cbranch_execz .LBB1_3
	s_branch .LBB1_41
.LBB1_35:                               ;   in Loop: Header=BB1_4 Depth=1
	v_cmp_lt_i32_e64 s[4:5], -1, v7
	v_cmp_gt_i32_e64 s[6:7], s12, v7
	s_and_b64 s[4:5], s[4:5], s[6:7]
	s_and_b64 s[4:5], vcc, s[4:5]
	s_and_saveexec_b64 s[6:7], s[4:5]
	s_cbranch_execz .LBB1_37
; %bb.36:                               ;   in Loop: Header=BB1_4 Depth=1
	v_ashrrev_i32_e32 v6, 31, v5
	v_add_u32_e32 v15, v7, v14
	v_lshlrev_b64 v[6:7], 3, v[5:6]
	v_mov_b32_e32 v16, s29
	v_add_co_u32_e64 v6, s[4:5], s28, v6
	v_addc_co_u32_e64 v7, s[4:5], v16, v7, s[4:5]
	v_ashrrev_i32_e32 v16, 31, v15
	v_lshlrev_b64 v[15:16], 3, v[15:16]
	v_mov_b32_e32 v17, s27
	v_add_co_u32_e64 v15, s[4:5], s26, v15
	v_addc_co_u32_e64 v16, s[4:5], v17, v16, s[4:5]
	global_load_dwordx2 v[6:7], v[6:7], off offset:48
	s_nop 0
	global_load_dwordx2 v[15:16], v[15:16], off
	s_waitcnt vmcnt(0)
	v_fma_f64 v[3:4], v[6:7], v[15:16], v[3:4]
.LBB1_37:                               ;   in Loop: Header=BB1_4 Depth=1
	s_or_b64 exec, exec, s[6:7]
	s_or_b64 exec, exec, s[38:39]
	s_and_saveexec_b64 s[38:39], s[2:3]
	s_cbranch_execz .LBB1_34
.LBB1_38:                               ;   in Loop: Header=BB1_4 Depth=1
	v_cmp_lt_i32_e64 s[4:5], -1, v8
	v_cmp_gt_i32_e64 s[6:7], s12, v8
	s_and_b64 s[4:5], s[4:5], s[6:7]
	s_and_b64 s[4:5], vcc, s[4:5]
	s_and_saveexec_b64 s[6:7], s[4:5]
	s_cbranch_execz .LBB1_40
; %bb.39:                               ;   in Loop: Header=BB1_4 Depth=1
	v_ashrrev_i32_e32 v6, 31, v5
	v_lshlrev_b64 v[15:16], 3, v[5:6]
	v_add_u32_e32 v7, v8, v14
	v_mov_b32_e32 v6, s29
	v_add_co_u32_e64 v15, s[4:5], s28, v15
	v_ashrrev_i32_e32 v8, 31, v7
	v_addc_co_u32_e64 v16, s[4:5], v6, v16, s[4:5]
	v_lshlrev_b64 v[6:7], 3, v[7:8]
	v_mov_b32_e32 v8, s27
	v_add_co_u32_e64 v6, s[4:5], s26, v6
	v_addc_co_u32_e64 v7, s[4:5], v8, v7, s[4:5]
	global_load_dwordx2 v[15:16], v[15:16], off offset:56
	s_nop 0
	global_load_dwordx2 v[6:7], v[6:7], off
	s_waitcnt vmcnt(0)
	v_fma_f64 v[3:4], v[15:16], v[6:7], v[3:4]
.LBB1_40:                               ;   in Loop: Header=BB1_4 Depth=1
	s_or_b64 exec, exec, s[6:7]
	s_or_b64 exec, exec, s[38:39]
	s_and_saveexec_b64 s[6:7], s[2:3]
	s_cbranch_execz .LBB1_3
.LBB1_41:                               ;   in Loop: Header=BB1_4 Depth=1
	v_cmp_lt_i32_e64 s[2:3], -1, v13
	v_cmp_gt_i32_e64 s[4:5], s12, v13
	s_and_b64 s[2:3], s[2:3], s[4:5]
	s_and_b64 s[4:5], vcc, s[2:3]
	s_and_saveexec_b64 s[2:3], s[4:5]
	s_cbranch_execz .LBB1_2
; %bb.42:                               ;   in Loop: Header=BB1_4 Depth=1
	v_ashrrev_i32_e32 v6, 31, v5
	v_lshlrev_b64 v[5:6], 3, v[5:6]
	v_add_u32_e32 v7, v13, v14
	v_mov_b32_e32 v8, s29
	v_add_co_u32_e32 v5, vcc, s28, v5
	v_addc_co_u32_e32 v6, vcc, v8, v6, vcc
	v_ashrrev_i32_e32 v8, 31, v7
	v_lshlrev_b64 v[7:8], 3, v[7:8]
	v_mov_b32_e32 v13, s27
	v_add_co_u32_e32 v7, vcc, s26, v7
	v_addc_co_u32_e32 v8, vcc, v13, v8, vcc
	global_load_dwordx2 v[5:6], v[5:6], off offset:64
	s_nop 0
	global_load_dwordx2 v[7:8], v[7:8], off
	s_waitcnt vmcnt(0)
	v_fma_f64 v[3:4], v[5:6], v[7:8], v[3:4]
	s_branch .LBB1_2
.LBB1_43:
	s_endpgm
	.section	.rodata,"a",@progbits
	.p2align	6, 0x0
	.amdhsa_kernel _ZN2at6native12_GLOBAL__N_131conv_depthwise2d_forward_kernelILi3EdiEEvN5torch10headeronly6detail27GenericPackedTensorAccessorINS5_14TensorAccessorIN3c108ArrayRefIlEEKT0_Lm3ENS4_16DefaultPtrTraitsEiEENS_6detail16IndexBoundsCheckILm4EiEESC_Lm4ESD_iEENS6_INS7_ISA_SB_Lm3ESD_iEESH_SB_Lm4ESD_iEESI_NS6_INS7_ISA_SC_Lm0ESD_iEENSG_ILm1EiEESC_Lm1ESD_iEEbT1_iiiiiiiiiiiiii
		.amdhsa_group_segment_fixed_size 0
		.amdhsa_private_segment_fixed_size 0
		.amdhsa_kernarg_size 456
		.amdhsa_user_sgpr_count 6
		.amdhsa_user_sgpr_private_segment_buffer 1
		.amdhsa_user_sgpr_dispatch_ptr 0
		.amdhsa_user_sgpr_queue_ptr 0
		.amdhsa_user_sgpr_kernarg_segment_ptr 1
		.amdhsa_user_sgpr_dispatch_id 0
		.amdhsa_user_sgpr_flat_scratch_init 0
		.amdhsa_user_sgpr_private_segment_size 0
		.amdhsa_uses_dynamic_stack 0
		.amdhsa_system_sgpr_private_segment_wavefront_offset 0
		.amdhsa_system_sgpr_workgroup_id_x 1
		.amdhsa_system_sgpr_workgroup_id_y 0
		.amdhsa_system_sgpr_workgroup_id_z 0
		.amdhsa_system_sgpr_workgroup_info 0
		.amdhsa_system_vgpr_workitem_id 0
		.amdhsa_next_free_vgpr 21
		.amdhsa_next_free_sgpr 51
		.amdhsa_reserve_vcc 1
		.amdhsa_reserve_flat_scratch 0
		.amdhsa_float_round_mode_32 0
		.amdhsa_float_round_mode_16_64 0
		.amdhsa_float_denorm_mode_32 3
		.amdhsa_float_denorm_mode_16_64 3
		.amdhsa_dx10_clamp 1
		.amdhsa_ieee_mode 1
		.amdhsa_fp16_overflow 0
		.amdhsa_exception_fp_ieee_invalid_op 0
		.amdhsa_exception_fp_denorm_src 0
		.amdhsa_exception_fp_ieee_div_zero 0
		.amdhsa_exception_fp_ieee_overflow 0
		.amdhsa_exception_fp_ieee_underflow 0
		.amdhsa_exception_fp_ieee_inexact 0
		.amdhsa_exception_int_div_zero 0
	.end_amdhsa_kernel
	.section	.text._ZN2at6native12_GLOBAL__N_131conv_depthwise2d_forward_kernelILi3EdiEEvN5torch10headeronly6detail27GenericPackedTensorAccessorINS5_14TensorAccessorIN3c108ArrayRefIlEEKT0_Lm3ENS4_16DefaultPtrTraitsEiEENS_6detail16IndexBoundsCheckILm4EiEESC_Lm4ESD_iEENS6_INS7_ISA_SB_Lm3ESD_iEESH_SB_Lm4ESD_iEESI_NS6_INS7_ISA_SC_Lm0ESD_iEENSG_ILm1EiEESC_Lm1ESD_iEEbT1_iiiiiiiiiiiiii,"axG",@progbits,_ZN2at6native12_GLOBAL__N_131conv_depthwise2d_forward_kernelILi3EdiEEvN5torch10headeronly6detail27GenericPackedTensorAccessorINS5_14TensorAccessorIN3c108ArrayRefIlEEKT0_Lm3ENS4_16DefaultPtrTraitsEiEENS_6detail16IndexBoundsCheckILm4EiEESC_Lm4ESD_iEENS6_INS7_ISA_SB_Lm3ESD_iEESH_SB_Lm4ESD_iEESI_NS6_INS7_ISA_SC_Lm0ESD_iEENSG_ILm1EiEESC_Lm1ESD_iEEbT1_iiiiiiiiiiiiii,comdat
.Lfunc_end1:
	.size	_ZN2at6native12_GLOBAL__N_131conv_depthwise2d_forward_kernelILi3EdiEEvN5torch10headeronly6detail27GenericPackedTensorAccessorINS5_14TensorAccessorIN3c108ArrayRefIlEEKT0_Lm3ENS4_16DefaultPtrTraitsEiEENS_6detail16IndexBoundsCheckILm4EiEESC_Lm4ESD_iEENS6_INS7_ISA_SB_Lm3ESD_iEESH_SB_Lm4ESD_iEESI_NS6_INS7_ISA_SC_Lm0ESD_iEENSG_ILm1EiEESC_Lm1ESD_iEEbT1_iiiiiiiiiiiiii, .Lfunc_end1-_ZN2at6native12_GLOBAL__N_131conv_depthwise2d_forward_kernelILi3EdiEEvN5torch10headeronly6detail27GenericPackedTensorAccessorINS5_14TensorAccessorIN3c108ArrayRefIlEEKT0_Lm3ENS4_16DefaultPtrTraitsEiEENS_6detail16IndexBoundsCheckILm4EiEESC_Lm4ESD_iEENS6_INS7_ISA_SB_Lm3ESD_iEESH_SB_Lm4ESD_iEESI_NS6_INS7_ISA_SC_Lm0ESD_iEENSG_ILm1EiEESC_Lm1ESD_iEEbT1_iiiiiiiiiiiiii
                                        ; -- End function
	.set _ZN2at6native12_GLOBAL__N_131conv_depthwise2d_forward_kernelILi3EdiEEvN5torch10headeronly6detail27GenericPackedTensorAccessorINS5_14TensorAccessorIN3c108ArrayRefIlEEKT0_Lm3ENS4_16DefaultPtrTraitsEiEENS_6detail16IndexBoundsCheckILm4EiEESC_Lm4ESD_iEENS6_INS7_ISA_SB_Lm3ESD_iEESH_SB_Lm4ESD_iEESI_NS6_INS7_ISA_SC_Lm0ESD_iEENSG_ILm1EiEESC_Lm1ESD_iEEbT1_iiiiiiiiiiiiii.num_vgpr, 21
	.set _ZN2at6native12_GLOBAL__N_131conv_depthwise2d_forward_kernelILi3EdiEEvN5torch10headeronly6detail27GenericPackedTensorAccessorINS5_14TensorAccessorIN3c108ArrayRefIlEEKT0_Lm3ENS4_16DefaultPtrTraitsEiEENS_6detail16IndexBoundsCheckILm4EiEESC_Lm4ESD_iEENS6_INS7_ISA_SB_Lm3ESD_iEESH_SB_Lm4ESD_iEESI_NS6_INS7_ISA_SC_Lm0ESD_iEENSG_ILm1EiEESC_Lm1ESD_iEEbT1_iiiiiiiiiiiiii.num_agpr, 0
	.set _ZN2at6native12_GLOBAL__N_131conv_depthwise2d_forward_kernelILi3EdiEEvN5torch10headeronly6detail27GenericPackedTensorAccessorINS5_14TensorAccessorIN3c108ArrayRefIlEEKT0_Lm3ENS4_16DefaultPtrTraitsEiEENS_6detail16IndexBoundsCheckILm4EiEESC_Lm4ESD_iEENS6_INS7_ISA_SB_Lm3ESD_iEESH_SB_Lm4ESD_iEESI_NS6_INS7_ISA_SC_Lm0ESD_iEENSG_ILm1EiEESC_Lm1ESD_iEEbT1_iiiiiiiiiiiiii.numbered_sgpr, 51
	.set _ZN2at6native12_GLOBAL__N_131conv_depthwise2d_forward_kernelILi3EdiEEvN5torch10headeronly6detail27GenericPackedTensorAccessorINS5_14TensorAccessorIN3c108ArrayRefIlEEKT0_Lm3ENS4_16DefaultPtrTraitsEiEENS_6detail16IndexBoundsCheckILm4EiEESC_Lm4ESD_iEENS6_INS7_ISA_SB_Lm3ESD_iEESH_SB_Lm4ESD_iEESI_NS6_INS7_ISA_SC_Lm0ESD_iEENSG_ILm1EiEESC_Lm1ESD_iEEbT1_iiiiiiiiiiiiii.num_named_barrier, 0
	.set _ZN2at6native12_GLOBAL__N_131conv_depthwise2d_forward_kernelILi3EdiEEvN5torch10headeronly6detail27GenericPackedTensorAccessorINS5_14TensorAccessorIN3c108ArrayRefIlEEKT0_Lm3ENS4_16DefaultPtrTraitsEiEENS_6detail16IndexBoundsCheckILm4EiEESC_Lm4ESD_iEENS6_INS7_ISA_SB_Lm3ESD_iEESH_SB_Lm4ESD_iEESI_NS6_INS7_ISA_SC_Lm0ESD_iEENSG_ILm1EiEESC_Lm1ESD_iEEbT1_iiiiiiiiiiiiii.private_seg_size, 0
	.set _ZN2at6native12_GLOBAL__N_131conv_depthwise2d_forward_kernelILi3EdiEEvN5torch10headeronly6detail27GenericPackedTensorAccessorINS5_14TensorAccessorIN3c108ArrayRefIlEEKT0_Lm3ENS4_16DefaultPtrTraitsEiEENS_6detail16IndexBoundsCheckILm4EiEESC_Lm4ESD_iEENS6_INS7_ISA_SB_Lm3ESD_iEESH_SB_Lm4ESD_iEESI_NS6_INS7_ISA_SC_Lm0ESD_iEENSG_ILm1EiEESC_Lm1ESD_iEEbT1_iiiiiiiiiiiiii.uses_vcc, 1
	.set _ZN2at6native12_GLOBAL__N_131conv_depthwise2d_forward_kernelILi3EdiEEvN5torch10headeronly6detail27GenericPackedTensorAccessorINS5_14TensorAccessorIN3c108ArrayRefIlEEKT0_Lm3ENS4_16DefaultPtrTraitsEiEENS_6detail16IndexBoundsCheckILm4EiEESC_Lm4ESD_iEENS6_INS7_ISA_SB_Lm3ESD_iEESH_SB_Lm4ESD_iEESI_NS6_INS7_ISA_SC_Lm0ESD_iEENSG_ILm1EiEESC_Lm1ESD_iEEbT1_iiiiiiiiiiiiii.uses_flat_scratch, 0
	.set _ZN2at6native12_GLOBAL__N_131conv_depthwise2d_forward_kernelILi3EdiEEvN5torch10headeronly6detail27GenericPackedTensorAccessorINS5_14TensorAccessorIN3c108ArrayRefIlEEKT0_Lm3ENS4_16DefaultPtrTraitsEiEENS_6detail16IndexBoundsCheckILm4EiEESC_Lm4ESD_iEENS6_INS7_ISA_SB_Lm3ESD_iEESH_SB_Lm4ESD_iEESI_NS6_INS7_ISA_SC_Lm0ESD_iEENSG_ILm1EiEESC_Lm1ESD_iEEbT1_iiiiiiiiiiiiii.has_dyn_sized_stack, 0
	.set _ZN2at6native12_GLOBAL__N_131conv_depthwise2d_forward_kernelILi3EdiEEvN5torch10headeronly6detail27GenericPackedTensorAccessorINS5_14TensorAccessorIN3c108ArrayRefIlEEKT0_Lm3ENS4_16DefaultPtrTraitsEiEENS_6detail16IndexBoundsCheckILm4EiEESC_Lm4ESD_iEENS6_INS7_ISA_SB_Lm3ESD_iEESH_SB_Lm4ESD_iEESI_NS6_INS7_ISA_SC_Lm0ESD_iEENSG_ILm1EiEESC_Lm1ESD_iEEbT1_iiiiiiiiiiiiii.has_recursion, 0
	.set _ZN2at6native12_GLOBAL__N_131conv_depthwise2d_forward_kernelILi3EdiEEvN5torch10headeronly6detail27GenericPackedTensorAccessorINS5_14TensorAccessorIN3c108ArrayRefIlEEKT0_Lm3ENS4_16DefaultPtrTraitsEiEENS_6detail16IndexBoundsCheckILm4EiEESC_Lm4ESD_iEENS6_INS7_ISA_SB_Lm3ESD_iEESH_SB_Lm4ESD_iEESI_NS6_INS7_ISA_SC_Lm0ESD_iEENSG_ILm1EiEESC_Lm1ESD_iEEbT1_iiiiiiiiiiiiii.has_indirect_call, 0
	.section	.AMDGPU.csdata,"",@progbits
; Kernel info:
; codeLenInByte = 2428
; TotalNumSgprs: 55
; NumVgprs: 21
; ScratchSize: 0
; MemoryBound: 0
; FloatMode: 240
; IeeeMode: 1
; LDSByteSize: 0 bytes/workgroup (compile time only)
; SGPRBlocks: 6
; VGPRBlocks: 5
; NumSGPRsForWavesPerEU: 55
; NumVGPRsForWavesPerEU: 21
; Occupancy: 10
; WaveLimiterHint : 0
; COMPUTE_PGM_RSRC2:SCRATCH_EN: 0
; COMPUTE_PGM_RSRC2:USER_SGPR: 6
; COMPUTE_PGM_RSRC2:TRAP_HANDLER: 0
; COMPUTE_PGM_RSRC2:TGID_X_EN: 1
; COMPUTE_PGM_RSRC2:TGID_Y_EN: 0
; COMPUTE_PGM_RSRC2:TGID_Z_EN: 0
; COMPUTE_PGM_RSRC2:TIDIG_COMP_CNT: 0
	.section	.text._ZN2at6native12_GLOBAL__N_131conv_depthwise2d_forward_kernelILi1EdiEEvN5torch10headeronly6detail27GenericPackedTensorAccessorINS5_14TensorAccessorIN3c108ArrayRefIlEEKT0_Lm3ENS4_16DefaultPtrTraitsEiEENS_6detail16IndexBoundsCheckILm4EiEESC_Lm4ESD_iEENS6_INS7_ISA_SB_Lm3ESD_iEESH_SB_Lm4ESD_iEESI_NS6_INS7_ISA_SC_Lm0ESD_iEENSG_ILm1EiEESC_Lm1ESD_iEEbT1_iiiiiiiiiiiiii,"axG",@progbits,_ZN2at6native12_GLOBAL__N_131conv_depthwise2d_forward_kernelILi1EdiEEvN5torch10headeronly6detail27GenericPackedTensorAccessorINS5_14TensorAccessorIN3c108ArrayRefIlEEKT0_Lm3ENS4_16DefaultPtrTraitsEiEENS_6detail16IndexBoundsCheckILm4EiEESC_Lm4ESD_iEENS6_INS7_ISA_SB_Lm3ESD_iEESH_SB_Lm4ESD_iEESI_NS6_INS7_ISA_SC_Lm0ESD_iEENSG_ILm1EiEESC_Lm1ESD_iEEbT1_iiiiiiiiiiiiii,comdat
	.globl	_ZN2at6native12_GLOBAL__N_131conv_depthwise2d_forward_kernelILi1EdiEEvN5torch10headeronly6detail27GenericPackedTensorAccessorINS5_14TensorAccessorIN3c108ArrayRefIlEEKT0_Lm3ENS4_16DefaultPtrTraitsEiEENS_6detail16IndexBoundsCheckILm4EiEESC_Lm4ESD_iEENS6_INS7_ISA_SB_Lm3ESD_iEESH_SB_Lm4ESD_iEESI_NS6_INS7_ISA_SC_Lm0ESD_iEENSG_ILm1EiEESC_Lm1ESD_iEEbT1_iiiiiiiiiiiiii ; -- Begin function _ZN2at6native12_GLOBAL__N_131conv_depthwise2d_forward_kernelILi1EdiEEvN5torch10headeronly6detail27GenericPackedTensorAccessorINS5_14TensorAccessorIN3c108ArrayRefIlEEKT0_Lm3ENS4_16DefaultPtrTraitsEiEENS_6detail16IndexBoundsCheckILm4EiEESC_Lm4ESD_iEENS6_INS7_ISA_SB_Lm3ESD_iEESH_SB_Lm4ESD_iEESI_NS6_INS7_ISA_SC_Lm0ESD_iEENSG_ILm1EiEESC_Lm1ESD_iEEbT1_iiiiiiiiiiiiii
	.p2align	8
	.type	_ZN2at6native12_GLOBAL__N_131conv_depthwise2d_forward_kernelILi1EdiEEvN5torch10headeronly6detail27GenericPackedTensorAccessorINS5_14TensorAccessorIN3c108ArrayRefIlEEKT0_Lm3ENS4_16DefaultPtrTraitsEiEENS_6detail16IndexBoundsCheckILm4EiEESC_Lm4ESD_iEENS6_INS7_ISA_SB_Lm3ESD_iEESH_SB_Lm4ESD_iEESI_NS6_INS7_ISA_SC_Lm0ESD_iEENSG_ILm1EiEESC_Lm1ESD_iEEbT1_iiiiiiiiiiiiii,@function
_ZN2at6native12_GLOBAL__N_131conv_depthwise2d_forward_kernelILi1EdiEEvN5torch10headeronly6detail27GenericPackedTensorAccessorINS5_14TensorAccessorIN3c108ArrayRefIlEEKT0_Lm3ENS4_16DefaultPtrTraitsEiEENS_6detail16IndexBoundsCheckILm4EiEESC_Lm4ESD_iEENS6_INS7_ISA_SB_Lm3ESD_iEESH_SB_Lm4ESD_iEESI_NS6_INS7_ISA_SC_Lm0ESD_iEENSG_ILm1EiEESC_Lm1ESD_iEEbT1_iiiiiiiiiiiiii: ; @_ZN2at6native12_GLOBAL__N_131conv_depthwise2d_forward_kernelILi1EdiEEvN5torch10headeronly6detail27GenericPackedTensorAccessorINS5_14TensorAccessorIN3c108ArrayRefIlEEKT0_Lm3ENS4_16DefaultPtrTraitsEiEENS_6detail16IndexBoundsCheckILm4EiEESC_Lm4ESD_iEENS6_INS7_ISA_SB_Lm3ESD_iEESH_SB_Lm4ESD_iEESI_NS6_INS7_ISA_SC_Lm0ESD_iEENSG_ILm1EiEESC_Lm1ESD_iEEbT1_iiiiiiiiiiiiii
; %bb.0:
	s_load_dword s0, s[4:5], 0xd4
	s_load_dwordx8 s[8:15], s[4:5], 0x88
	s_add_u32 s2, s4, 0xc8
	s_addc_u32 s3, s5, 0
	v_mov_b32_e32 v9, 0
	s_waitcnt lgkmcnt(0)
	s_and_b32 s7, s0, 0xffff
	s_mul_hi_u32 s33, s7, s6
	s_mul_i32 s36, s7, s6
	v_mov_b32_e32 v2, s33
	v_add_co_u32_e32 v1, vcc, s36, v0
	v_addc_co_u32_e32 v2, vcc, 0, v2, vcc
	s_ashr_i32 s21, s9, 31
	s_mov_b32 s20, s9
	v_cmp_gt_i64_e32 vcc, s[20:21], v[1:2]
	s_and_saveexec_b64 s[0:1], vcc
	s_cbranch_execz .LBB2_9
; %bb.1:
	s_bitcmp1_b32 s8, 0
	s_cselect_b64 s[8:9], -1, 0
	s_cmp_lg_u32 s11, 1
	s_cselect_b64 s[0:1], -1, 0
	s_abs_i32 s37, s14
	v_cvt_f32_u32_e32 v3, s37
	s_abs_i32 s39, s15
	v_cvt_f32_u32_e32 v4, s39
	s_load_dwordx4 s[16:19], s[4:5], 0xa8
	s_load_dwordx2 s[22:23], s[4:5], 0xb8
	v_rcp_iflag_f32_e32 v3, v3
	s_load_dwordx2 s[24:25], s[4:5], 0x0
	s_load_dwordx2 s[30:31], s[4:5], 0x28
	;; [unrolled: 1-line block ×4, first 2 shown]
	s_load_dword s6, s[2:3], 0x0
	v_rcp_iflag_f32_e32 v4, v4
	s_sub_i32 s2, 0, s37
	v_mul_f32_e32 v3, 0x4f7ffffe, v3
	v_cvt_u32_f32_e32 v3, v3
	s_abs_i32 s40, s10
	v_cvt_f32_u32_e32 v6, s40
	v_mul_f32_e32 v4, 0x4f7ffffe, v4
	v_mul_lo_u32 v5, s2, v3
	v_cvt_u32_f32_e32 v4, v4
	v_rcp_iflag_f32_e32 v6, v6
	s_sub_i32 s2, 0, s39
	v_mul_hi_u32 v5, v3, v5
	s_abs_i32 s42, s11
	v_mul_lo_u32 v7, s2, v4
	s_sub_i32 s2, 0, s40
	v_add_u32_e32 v10, v3, v5
	v_mul_f32_e32 v5, 0x4f7ffffe, v6
	v_cvt_f32_u32_e32 v6, s42
	v_mul_hi_u32 v3, v4, v7
	v_cvt_u32_f32_e32 v5, v5
	s_ashr_i32 s44, s10, 31
	v_rcp_iflag_f32_e32 v6, v6
	v_add_u32_e32 v11, v4, v3
	v_mul_lo_u32 v7, s2, v5
	s_sub_i32 s2, 0, s42
	v_mul_f32_e32 v4, 0x4f7ffffe, v6
	v_cvt_u32_f32_e32 v4, v4
	s_ashr_i32 s11, s11, 31
	s_waitcnt lgkmcnt(0)
	s_mul_i32 s38, s17, s16
	s_mul_i32 s16, s6, s7
	v_readfirstlane_b32 s3, v4
	s_mul_i32 s2, s2, s3
	s_mul_hi_u32 s2, s3, s2
	s_add_i32 s45, s3, s2
	s_mul_hi_u32 s3, s40, s45
	s_mul_i32 s4, s3, s42
	s_sub_i32 s4, s40, s4
	s_ashr_i32 s41, s14, 31
	s_ashr_i32 s43, s15, 31
	s_xor_b32 s2, s44, s11
	s_add_i32 s5, s3, 1
	s_sub_i32 s6, s4, s42
	v_mul_hi_u32 v3, v5, v7
	s_cmp_ge_u32 s4, s42
	s_cselect_b32 s3, s5, s3
	s_cselect_b32 s4, s6, s4
	s_add_i32 s5, s3, 1
	v_lshlrev_b64 v[1:2], 3, v[1:2]
	s_cmp_ge_u32 s4, s42
	v_add_u32_e32 v12, v5, v3
	s_cselect_b32 s3, s5, s3
	v_mov_b32_e32 v3, s31
	v_add_co_u32_e32 v1, vcc, s30, v1
	s_mov_b32 s17, 0
	s_xor_b32 s3, s3, s2
	v_addc_co_u32_e32 v2, vcc, v3, v2, vcc
	v_cndmask_b32_e64 v3, 0, 1, s[0:1]
	s_sub_i32 s46, s3, s2
	s_lshl_b64 s[30:31], s[16:17], 3
	s_sub_i32 s14, 0, s14
	s_mov_b64 s[34:35], 0
	v_cmp_ne_u32_e64 s[0:1], 1, v3
	s_branch .LBB2_3
.LBB2_2:                                ;   in Loop: Header=BB2_3 Depth=1
	s_or_b64 exec, exec, s[2:3]
	v_add_co_u32_e32 v0, vcc, s16, v0
	v_addc_co_u32_e32 v9, vcc, 0, v9, vcc
	v_mov_b32_e32 v4, s33
	v_add_co_u32_e32 v3, vcc, s36, v0
	v_addc_co_u32_e32 v4, vcc, v4, v9, vcc
	v_cmp_le_i64_e32 vcc, s[20:21], v[3:4]
	s_waitcnt vmcnt(0)
	global_store_dwordx2 v[1:2], v[6:7], off
	v_mov_b32_e32 v3, s31
	s_or_b64 s[34:35], vcc, s[34:35]
	v_add_co_u32_e32 v1, vcc, s30, v1
	v_addc_co_u32_e32 v2, vcc, v2, v3, vcc
	s_andn2_b64 exec, exec, s[34:35]
	s_cbranch_execz .LBB2_9
.LBB2_3:                                ; =>This Inner Loop Header: Depth=1
	v_add_co_u32_e32 v3, vcc, s36, v0
	v_sub_u32_e32 v4, 0, v3
	v_max_i32_e32 v4, v3, v4
	v_mul_hi_u32 v5, v4, v10
	v_ashrrev_i32_e32 v7, 31, v3
	v_xor_b32_e32 v7, s41, v7
	s_mov_b32 s17, s10
	v_mul_lo_u32 v6, v5, s37
	v_add_u32_e32 v8, 1, v5
	v_sub_u32_e32 v4, v4, v6
	v_cmp_le_u32_e32 vcc, s37, v4
	v_subrev_u32_e32 v6, s37, v4
	v_cndmask_b32_e32 v5, v5, v8, vcc
	v_cndmask_b32_e32 v4, v4, v6, vcc
	v_add_u32_e32 v6, 1, v5
	v_cmp_le_u32_e32 vcc, s37, v4
	v_cndmask_b32_e32 v4, v5, v6, vcc
	v_xor_b32_e32 v4, v4, v7
	v_sub_u32_e32 v13, v4, v7
	v_sub_u32_e32 v4, 0, v13
	v_max_i32_e32 v4, v13, v4
	v_mul_hi_u32 v5, v4, v11
	v_ashrrev_i32_e32 v7, 31, v13
	v_xor_b32_e32 v7, s43, v7
	v_mul_lo_u32 v6, v5, s39
	v_add_u32_e32 v8, 1, v5
	v_sub_u32_e32 v4, v4, v6
	v_cmp_le_u32_e32 vcc, s39, v4
	v_subrev_u32_e32 v6, s39, v4
	v_cndmask_b32_e32 v5, v5, v8, vcc
	v_cndmask_b32_e32 v4, v4, v6, vcc
	v_add_u32_e32 v6, 1, v5
	v_cmp_le_u32_e32 vcc, s39, v4
	v_cndmask_b32_e32 v4, v5, v6, vcc
	v_xor_b32_e32 v4, v4, v7
	v_sub_u32_e32 v15, v4, v7
	v_sub_u32_e32 v4, 0, v15
	v_max_i32_e32 v4, v15, v4
	v_mul_hi_u32 v5, v4, v12
	v_ashrrev_i32_e32 v7, 31, v15
	v_xor_b32_e32 v7, s44, v7
	v_mul_lo_u32 v6, v5, s40
	v_add_u32_e32 v8, 1, v5
	v_sub_u32_e32 v4, v4, v6
	v_cmp_le_u32_e32 vcc, s40, v4
	v_subrev_u32_e32 v6, s40, v4
	v_cndmask_b32_e32 v5, v5, v8, vcc
	v_cndmask_b32_e32 v4, v4, v6, vcc
	v_add_u32_e32 v6, 1, v5
	v_cmp_le_u32_e32 vcc, s40, v4
	v_cndmask_b32_e32 v4, v5, v6, vcc
	v_xor_b32_e32 v4, v4, v7
	v_sub_u32_e32 v14, v4, v7
	v_mul_lo_u32 v4, v14, s10
	s_and_b64 vcc, exec, s[0:1]
	v_sub_u32_e32 v4, v15, v4
	v_ashrrev_i32_e32 v5, 31, v4
	v_mov_b32_e32 v8, v4
	s_cbranch_vccnz .LBB2_5
; %bb.4:                                ;   in Loop: Header=BB2_3 Depth=1
	v_sub_u32_e32 v6, 0, v4
	v_max_i32_e32 v6, v4, v6
	v_mul_hi_u32 v7, v6, s45
	v_xor_b32_e32 v16, s11, v5
	s_mov_b32 s17, s46
	v_mul_lo_u32 v8, v7, s42
	v_add_u32_e32 v17, 1, v7
	v_sub_u32_e32 v6, v6, v8
	v_cmp_le_u32_e32 vcc, s42, v6
	v_subrev_u32_e32 v8, s42, v6
	v_cndmask_b32_e32 v7, v7, v17, vcc
	v_cndmask_b32_e32 v6, v6, v8, vcc
	v_add_u32_e32 v8, 1, v7
	v_cmp_le_u32_e32 vcc, s42, v6
	v_cndmask_b32_e32 v6, v7, v8, vcc
	v_xor_b32_e32 v6, v6, v16
	v_sub_u32_e32 v8, v6, v16
.LBB2_5:                                ;   in Loop: Header=BB2_3 Depth=1
	v_mov_b32_e32 v6, 0
	v_mov_b32_e32 v7, 0
	s_andn2_b64 vcc, exec, s[8:9]
	s_cbranch_vccnz .LBB2_7
; %bb.6:                                ;   in Loop: Header=BB2_3 Depth=1
	v_lshlrev_b64 v[5:6], 3, v[4:5]
	v_mov_b32_e32 v7, s29
	v_add_co_u32_e32 v5, vcc, s28, v5
	v_addc_co_u32_e32 v6, vcc, v7, v6, vcc
	global_load_dwordx2 v[6:7], v[5:6], off
.LBB2_7:                                ;   in Loop: Header=BB2_3 Depth=1
	v_mul_lo_u32 v5, v15, s15
	v_mad_u64_u32 v[15:16], s[2:3], s14, v13, v[3:4]
	v_sub_u32_e32 v3, v13, v5
	v_mul_lo_u32 v5, v15, s18
	v_mul_lo_u32 v13, v3, s19
	v_subrev_u32_e32 v3, s22, v5
	v_subrev_u32_e32 v5, s23, v13
	v_cmp_gt_i32_e32 vcc, 0, v3
	v_cmp_gt_i32_e64 s[2:3], 0, v5
	v_cmp_le_i32_e64 s[4:5], s13, v5
	v_cmp_le_i32_e64 s[6:7], s12, v3
	s_or_b64 s[6:7], vcc, s[6:7]
	s_or_b64 s[2:3], s[2:3], s[4:5]
	s_nor_b64 s[4:5], s[2:3], s[6:7]
	s_and_saveexec_b64 s[2:3], s[4:5]
	s_cbranch_execz .LBB2_2
; %bb.8:                                ;   in Loop: Header=BB2_3 Depth=1
	v_mad_u64_u32 v[13:14], s[4:5], s17, v14, v[8:9]
	v_mul_lo_u32 v4, s38, v4
	v_mov_b32_e32 v8, s25
	s_waitcnt vmcnt(0)
	v_mad_u64_u32 v[13:14], s[4:5], v13, s13, v[5:6]
	v_ashrrev_i32_e32 v5, 31, v4
	v_mad_u64_u32 v[13:14], s[4:5], v13, s12, v[3:4]
	v_lshlrev_b64 v[3:4], 3, v[4:5]
	v_mov_b32_e32 v5, s27
	v_ashrrev_i32_e32 v14, 31, v13
	v_lshlrev_b64 v[13:14], 3, v[13:14]
	v_add_co_u32_e32 v13, vcc, s24, v13
	v_addc_co_u32_e32 v14, vcc, v8, v14, vcc
	v_add_co_u32_e32 v3, vcc, s26, v3
	v_addc_co_u32_e32 v4, vcc, v5, v4, vcc
	global_load_dwordx2 v[15:16], v[3:4], off
	global_load_dwordx2 v[17:18], v[13:14], off
	s_waitcnt vmcnt(0)
	v_fma_f64 v[6:7], v[15:16], v[17:18], v[6:7]
	s_branch .LBB2_2
.LBB2_9:
	s_endpgm
	.section	.rodata,"a",@progbits
	.p2align	6, 0x0
	.amdhsa_kernel _ZN2at6native12_GLOBAL__N_131conv_depthwise2d_forward_kernelILi1EdiEEvN5torch10headeronly6detail27GenericPackedTensorAccessorINS5_14TensorAccessorIN3c108ArrayRefIlEEKT0_Lm3ENS4_16DefaultPtrTraitsEiEENS_6detail16IndexBoundsCheckILm4EiEESC_Lm4ESD_iEENS6_INS7_ISA_SB_Lm3ESD_iEESH_SB_Lm4ESD_iEESI_NS6_INS7_ISA_SC_Lm0ESD_iEENSG_ILm1EiEESC_Lm1ESD_iEEbT1_iiiiiiiiiiiiii
		.amdhsa_group_segment_fixed_size 0
		.amdhsa_private_segment_fixed_size 0
		.amdhsa_kernarg_size 456
		.amdhsa_user_sgpr_count 6
		.amdhsa_user_sgpr_private_segment_buffer 1
		.amdhsa_user_sgpr_dispatch_ptr 0
		.amdhsa_user_sgpr_queue_ptr 0
		.amdhsa_user_sgpr_kernarg_segment_ptr 1
		.amdhsa_user_sgpr_dispatch_id 0
		.amdhsa_user_sgpr_flat_scratch_init 0
		.amdhsa_user_sgpr_private_segment_size 0
		.amdhsa_uses_dynamic_stack 0
		.amdhsa_system_sgpr_private_segment_wavefront_offset 0
		.amdhsa_system_sgpr_workgroup_id_x 1
		.amdhsa_system_sgpr_workgroup_id_y 0
		.amdhsa_system_sgpr_workgroup_id_z 0
		.amdhsa_system_sgpr_workgroup_info 0
		.amdhsa_system_vgpr_workitem_id 0
		.amdhsa_next_free_vgpr 19
		.amdhsa_next_free_sgpr 47
		.amdhsa_reserve_vcc 1
		.amdhsa_reserve_flat_scratch 0
		.amdhsa_float_round_mode_32 0
		.amdhsa_float_round_mode_16_64 0
		.amdhsa_float_denorm_mode_32 3
		.amdhsa_float_denorm_mode_16_64 3
		.amdhsa_dx10_clamp 1
		.amdhsa_ieee_mode 1
		.amdhsa_fp16_overflow 0
		.amdhsa_exception_fp_ieee_invalid_op 0
		.amdhsa_exception_fp_denorm_src 0
		.amdhsa_exception_fp_ieee_div_zero 0
		.amdhsa_exception_fp_ieee_overflow 0
		.amdhsa_exception_fp_ieee_underflow 0
		.amdhsa_exception_fp_ieee_inexact 0
		.amdhsa_exception_int_div_zero 0
	.end_amdhsa_kernel
	.section	.text._ZN2at6native12_GLOBAL__N_131conv_depthwise2d_forward_kernelILi1EdiEEvN5torch10headeronly6detail27GenericPackedTensorAccessorINS5_14TensorAccessorIN3c108ArrayRefIlEEKT0_Lm3ENS4_16DefaultPtrTraitsEiEENS_6detail16IndexBoundsCheckILm4EiEESC_Lm4ESD_iEENS6_INS7_ISA_SB_Lm3ESD_iEESH_SB_Lm4ESD_iEESI_NS6_INS7_ISA_SC_Lm0ESD_iEENSG_ILm1EiEESC_Lm1ESD_iEEbT1_iiiiiiiiiiiiii,"axG",@progbits,_ZN2at6native12_GLOBAL__N_131conv_depthwise2d_forward_kernelILi1EdiEEvN5torch10headeronly6detail27GenericPackedTensorAccessorINS5_14TensorAccessorIN3c108ArrayRefIlEEKT0_Lm3ENS4_16DefaultPtrTraitsEiEENS_6detail16IndexBoundsCheckILm4EiEESC_Lm4ESD_iEENS6_INS7_ISA_SB_Lm3ESD_iEESH_SB_Lm4ESD_iEESI_NS6_INS7_ISA_SC_Lm0ESD_iEENSG_ILm1EiEESC_Lm1ESD_iEEbT1_iiiiiiiiiiiiii,comdat
.Lfunc_end2:
	.size	_ZN2at6native12_GLOBAL__N_131conv_depthwise2d_forward_kernelILi1EdiEEvN5torch10headeronly6detail27GenericPackedTensorAccessorINS5_14TensorAccessorIN3c108ArrayRefIlEEKT0_Lm3ENS4_16DefaultPtrTraitsEiEENS_6detail16IndexBoundsCheckILm4EiEESC_Lm4ESD_iEENS6_INS7_ISA_SB_Lm3ESD_iEESH_SB_Lm4ESD_iEESI_NS6_INS7_ISA_SC_Lm0ESD_iEENSG_ILm1EiEESC_Lm1ESD_iEEbT1_iiiiiiiiiiiiii, .Lfunc_end2-_ZN2at6native12_GLOBAL__N_131conv_depthwise2d_forward_kernelILi1EdiEEvN5torch10headeronly6detail27GenericPackedTensorAccessorINS5_14TensorAccessorIN3c108ArrayRefIlEEKT0_Lm3ENS4_16DefaultPtrTraitsEiEENS_6detail16IndexBoundsCheckILm4EiEESC_Lm4ESD_iEENS6_INS7_ISA_SB_Lm3ESD_iEESH_SB_Lm4ESD_iEESI_NS6_INS7_ISA_SC_Lm0ESD_iEENSG_ILm1EiEESC_Lm1ESD_iEEbT1_iiiiiiiiiiiiii
                                        ; -- End function
	.set _ZN2at6native12_GLOBAL__N_131conv_depthwise2d_forward_kernelILi1EdiEEvN5torch10headeronly6detail27GenericPackedTensorAccessorINS5_14TensorAccessorIN3c108ArrayRefIlEEKT0_Lm3ENS4_16DefaultPtrTraitsEiEENS_6detail16IndexBoundsCheckILm4EiEESC_Lm4ESD_iEENS6_INS7_ISA_SB_Lm3ESD_iEESH_SB_Lm4ESD_iEESI_NS6_INS7_ISA_SC_Lm0ESD_iEENSG_ILm1EiEESC_Lm1ESD_iEEbT1_iiiiiiiiiiiiii.num_vgpr, 19
	.set _ZN2at6native12_GLOBAL__N_131conv_depthwise2d_forward_kernelILi1EdiEEvN5torch10headeronly6detail27GenericPackedTensorAccessorINS5_14TensorAccessorIN3c108ArrayRefIlEEKT0_Lm3ENS4_16DefaultPtrTraitsEiEENS_6detail16IndexBoundsCheckILm4EiEESC_Lm4ESD_iEENS6_INS7_ISA_SB_Lm3ESD_iEESH_SB_Lm4ESD_iEESI_NS6_INS7_ISA_SC_Lm0ESD_iEENSG_ILm1EiEESC_Lm1ESD_iEEbT1_iiiiiiiiiiiiii.num_agpr, 0
	.set _ZN2at6native12_GLOBAL__N_131conv_depthwise2d_forward_kernelILi1EdiEEvN5torch10headeronly6detail27GenericPackedTensorAccessorINS5_14TensorAccessorIN3c108ArrayRefIlEEKT0_Lm3ENS4_16DefaultPtrTraitsEiEENS_6detail16IndexBoundsCheckILm4EiEESC_Lm4ESD_iEENS6_INS7_ISA_SB_Lm3ESD_iEESH_SB_Lm4ESD_iEESI_NS6_INS7_ISA_SC_Lm0ESD_iEENSG_ILm1EiEESC_Lm1ESD_iEEbT1_iiiiiiiiiiiiii.numbered_sgpr, 47
	.set _ZN2at6native12_GLOBAL__N_131conv_depthwise2d_forward_kernelILi1EdiEEvN5torch10headeronly6detail27GenericPackedTensorAccessorINS5_14TensorAccessorIN3c108ArrayRefIlEEKT0_Lm3ENS4_16DefaultPtrTraitsEiEENS_6detail16IndexBoundsCheckILm4EiEESC_Lm4ESD_iEENS6_INS7_ISA_SB_Lm3ESD_iEESH_SB_Lm4ESD_iEESI_NS6_INS7_ISA_SC_Lm0ESD_iEENSG_ILm1EiEESC_Lm1ESD_iEEbT1_iiiiiiiiiiiiii.num_named_barrier, 0
	.set _ZN2at6native12_GLOBAL__N_131conv_depthwise2d_forward_kernelILi1EdiEEvN5torch10headeronly6detail27GenericPackedTensorAccessorINS5_14TensorAccessorIN3c108ArrayRefIlEEKT0_Lm3ENS4_16DefaultPtrTraitsEiEENS_6detail16IndexBoundsCheckILm4EiEESC_Lm4ESD_iEENS6_INS7_ISA_SB_Lm3ESD_iEESH_SB_Lm4ESD_iEESI_NS6_INS7_ISA_SC_Lm0ESD_iEENSG_ILm1EiEESC_Lm1ESD_iEEbT1_iiiiiiiiiiiiii.private_seg_size, 0
	.set _ZN2at6native12_GLOBAL__N_131conv_depthwise2d_forward_kernelILi1EdiEEvN5torch10headeronly6detail27GenericPackedTensorAccessorINS5_14TensorAccessorIN3c108ArrayRefIlEEKT0_Lm3ENS4_16DefaultPtrTraitsEiEENS_6detail16IndexBoundsCheckILm4EiEESC_Lm4ESD_iEENS6_INS7_ISA_SB_Lm3ESD_iEESH_SB_Lm4ESD_iEESI_NS6_INS7_ISA_SC_Lm0ESD_iEENSG_ILm1EiEESC_Lm1ESD_iEEbT1_iiiiiiiiiiiiii.uses_vcc, 1
	.set _ZN2at6native12_GLOBAL__N_131conv_depthwise2d_forward_kernelILi1EdiEEvN5torch10headeronly6detail27GenericPackedTensorAccessorINS5_14TensorAccessorIN3c108ArrayRefIlEEKT0_Lm3ENS4_16DefaultPtrTraitsEiEENS_6detail16IndexBoundsCheckILm4EiEESC_Lm4ESD_iEENS6_INS7_ISA_SB_Lm3ESD_iEESH_SB_Lm4ESD_iEESI_NS6_INS7_ISA_SC_Lm0ESD_iEENSG_ILm1EiEESC_Lm1ESD_iEEbT1_iiiiiiiiiiiiii.uses_flat_scratch, 0
	.set _ZN2at6native12_GLOBAL__N_131conv_depthwise2d_forward_kernelILi1EdiEEvN5torch10headeronly6detail27GenericPackedTensorAccessorINS5_14TensorAccessorIN3c108ArrayRefIlEEKT0_Lm3ENS4_16DefaultPtrTraitsEiEENS_6detail16IndexBoundsCheckILm4EiEESC_Lm4ESD_iEENS6_INS7_ISA_SB_Lm3ESD_iEESH_SB_Lm4ESD_iEESI_NS6_INS7_ISA_SC_Lm0ESD_iEENSG_ILm1EiEESC_Lm1ESD_iEEbT1_iiiiiiiiiiiiii.has_dyn_sized_stack, 0
	.set _ZN2at6native12_GLOBAL__N_131conv_depthwise2d_forward_kernelILi1EdiEEvN5torch10headeronly6detail27GenericPackedTensorAccessorINS5_14TensorAccessorIN3c108ArrayRefIlEEKT0_Lm3ENS4_16DefaultPtrTraitsEiEENS_6detail16IndexBoundsCheckILm4EiEESC_Lm4ESD_iEENS6_INS7_ISA_SB_Lm3ESD_iEESH_SB_Lm4ESD_iEESI_NS6_INS7_ISA_SC_Lm0ESD_iEENSG_ILm1EiEESC_Lm1ESD_iEEbT1_iiiiiiiiiiiiii.has_recursion, 0
	.set _ZN2at6native12_GLOBAL__N_131conv_depthwise2d_forward_kernelILi1EdiEEvN5torch10headeronly6detail27GenericPackedTensorAccessorINS5_14TensorAccessorIN3c108ArrayRefIlEEKT0_Lm3ENS4_16DefaultPtrTraitsEiEENS_6detail16IndexBoundsCheckILm4EiEESC_Lm4ESD_iEENS6_INS7_ISA_SB_Lm3ESD_iEESH_SB_Lm4ESD_iEESI_NS6_INS7_ISA_SC_Lm0ESD_iEENSG_ILm1EiEESC_Lm1ESD_iEEbT1_iiiiiiiiiiiiii.has_indirect_call, 0
	.section	.AMDGPU.csdata,"",@progbits
; Kernel info:
; codeLenInByte = 1144
; TotalNumSgprs: 51
; NumVgprs: 19
; ScratchSize: 0
; MemoryBound: 0
; FloatMode: 240
; IeeeMode: 1
; LDSByteSize: 0 bytes/workgroup (compile time only)
; SGPRBlocks: 6
; VGPRBlocks: 4
; NumSGPRsForWavesPerEU: 51
; NumVGPRsForWavesPerEU: 19
; Occupancy: 10
; WaveLimiterHint : 0
; COMPUTE_PGM_RSRC2:SCRATCH_EN: 0
; COMPUTE_PGM_RSRC2:USER_SGPR: 6
; COMPUTE_PGM_RSRC2:TRAP_HANDLER: 0
; COMPUTE_PGM_RSRC2:TGID_X_EN: 1
; COMPUTE_PGM_RSRC2:TGID_Y_EN: 0
; COMPUTE_PGM_RSRC2:TGID_Z_EN: 0
; COMPUTE_PGM_RSRC2:TIDIG_COMP_CNT: 0
	.section	.text._ZN2at6native12_GLOBAL__N_139conv_depthwise2d_forward_kernel_genericIdiEEvN5torch10headeronly6detail27GenericPackedTensorAccessorINS5_14TensorAccessorIN3c108ArrayRefIlEEKT_Lm3ENS4_16DefaultPtrTraitsEiEENS_6detail16IndexBoundsCheckILm4EiEESC_Lm4ESD_iEENS6_INS7_ISA_SB_Lm3ESD_iEESH_SB_Lm4ESD_iEESI_NS6_INS7_ISA_SC_Lm0ESD_iEENSG_ILm1EiEESC_Lm1ESD_iEEbT0_iiiiiiiiiiiiii,"axG",@progbits,_ZN2at6native12_GLOBAL__N_139conv_depthwise2d_forward_kernel_genericIdiEEvN5torch10headeronly6detail27GenericPackedTensorAccessorINS5_14TensorAccessorIN3c108ArrayRefIlEEKT_Lm3ENS4_16DefaultPtrTraitsEiEENS_6detail16IndexBoundsCheckILm4EiEESC_Lm4ESD_iEENS6_INS7_ISA_SB_Lm3ESD_iEESH_SB_Lm4ESD_iEESI_NS6_INS7_ISA_SC_Lm0ESD_iEENSG_ILm1EiEESC_Lm1ESD_iEEbT0_iiiiiiiiiiiiii,comdat
	.globl	_ZN2at6native12_GLOBAL__N_139conv_depthwise2d_forward_kernel_genericIdiEEvN5torch10headeronly6detail27GenericPackedTensorAccessorINS5_14TensorAccessorIN3c108ArrayRefIlEEKT_Lm3ENS4_16DefaultPtrTraitsEiEENS_6detail16IndexBoundsCheckILm4EiEESC_Lm4ESD_iEENS6_INS7_ISA_SB_Lm3ESD_iEESH_SB_Lm4ESD_iEESI_NS6_INS7_ISA_SC_Lm0ESD_iEENSG_ILm1EiEESC_Lm1ESD_iEEbT0_iiiiiiiiiiiiii ; -- Begin function _ZN2at6native12_GLOBAL__N_139conv_depthwise2d_forward_kernel_genericIdiEEvN5torch10headeronly6detail27GenericPackedTensorAccessorINS5_14TensorAccessorIN3c108ArrayRefIlEEKT_Lm3ENS4_16DefaultPtrTraitsEiEENS_6detail16IndexBoundsCheckILm4EiEESC_Lm4ESD_iEENS6_INS7_ISA_SB_Lm3ESD_iEESH_SB_Lm4ESD_iEESI_NS6_INS7_ISA_SC_Lm0ESD_iEENSG_ILm1EiEESC_Lm1ESD_iEEbT0_iiiiiiiiiiiiii
	.p2align	8
	.type	_ZN2at6native12_GLOBAL__N_139conv_depthwise2d_forward_kernel_genericIdiEEvN5torch10headeronly6detail27GenericPackedTensorAccessorINS5_14TensorAccessorIN3c108ArrayRefIlEEKT_Lm3ENS4_16DefaultPtrTraitsEiEENS_6detail16IndexBoundsCheckILm4EiEESC_Lm4ESD_iEENS6_INS7_ISA_SB_Lm3ESD_iEESH_SB_Lm4ESD_iEESI_NS6_INS7_ISA_SC_Lm0ESD_iEENSG_ILm1EiEESC_Lm1ESD_iEEbT0_iiiiiiiiiiiiii,@function
_ZN2at6native12_GLOBAL__N_139conv_depthwise2d_forward_kernel_genericIdiEEvN5torch10headeronly6detail27GenericPackedTensorAccessorINS5_14TensorAccessorIN3c108ArrayRefIlEEKT_Lm3ENS4_16DefaultPtrTraitsEiEENS_6detail16IndexBoundsCheckILm4EiEESC_Lm4ESD_iEENS6_INS7_ISA_SB_Lm3ESD_iEESH_SB_Lm4ESD_iEESI_NS6_INS7_ISA_SC_Lm0ESD_iEENSG_ILm1EiEESC_Lm1ESD_iEEbT0_iiiiiiiiiiiiii: ; @_ZN2at6native12_GLOBAL__N_139conv_depthwise2d_forward_kernel_genericIdiEEvN5torch10headeronly6detail27GenericPackedTensorAccessorINS5_14TensorAccessorIN3c108ArrayRefIlEEKT_Lm3ENS4_16DefaultPtrTraitsEiEENS_6detail16IndexBoundsCheckILm4EiEESC_Lm4ESD_iEENS6_INS7_ISA_SB_Lm3ESD_iEESH_SB_Lm4ESD_iEESI_NS6_INS7_ISA_SC_Lm0ESD_iEENSG_ILm1EiEESC_Lm1ESD_iEEbT0_iiiiiiiiiiiiii
; %bb.0:
	s_load_dword s0, s[4:5], 0xd4
	s_load_dwordx16 s[8:23], s[4:5], 0x88
	s_add_u32 s2, s4, 0xc8
	s_addc_u32 s3, s5, 0
	v_mov_b32_e32 v1, 0
	s_waitcnt lgkmcnt(0)
	s_and_b32 s34, s0, 0xffff
	v_mov_b32_e32 v2, s6
	v_mad_u64_u32 v[0:1], s[0:1], s34, v2, v[0:1]
	s_ashr_i32 s7, s9, 31
	s_mov_b32 s6, s9
	v_cmp_gt_i64_e32 vcc, s[6:7], v[0:1]
	s_and_saveexec_b64 s[0:1], vcc
	s_cbranch_execz .LBB3_23
; %bb.1:
	s_bitcmp1_b32 s8, 0
	s_cselect_b64 s[8:9], -1, 0
	s_cmp_lg_u32 s11, 1
	s_cselect_b64 s[0:1], -1, 0
	s_abs_i32 s33, s14
	v_cvt_f32_u32_e32 v2, s33
	s_load_dwordx2 s[24:25], s[4:5], 0x0
	s_load_dwordx2 s[26:27], s[4:5], 0x28
	s_load_dwordx2 s[28:29], s[4:5], 0x50
	s_load_dwordx2 s[30:31], s[4:5], 0x78
	s_load_dword s35, s[2:3], 0x0
	s_sub_i32 s3, 0, s33
	s_abs_i32 s43, s15
	v_rcp_iflag_f32_e32 v2, v2
	v_cvt_f32_u32_e32 v4, s43
	s_abs_i32 s48, s10
	s_abs_i32 s49, s11
	v_mul_f32_e32 v2, 0x4f7ffffe, v2
	v_cvt_u32_f32_e32 v2, v2
	v_cvt_f32_u32_e32 v5, s49
	v_rcp_iflag_f32_e32 v4, v4
	s_add_i32 s2, s17, -1
	v_mul_lo_u32 v3, s3, v2
	v_rcp_iflag_f32_e32 v5, v5
	s_mul_i32 s2, s23, s2
	s_sub_i32 s42, s2, s13
	v_mul_hi_u32 v3, v2, v3
	v_mul_f32_e32 v5, 0x4f7ffffe, v5
	s_add_i32 s2, s16, -1
	v_cvt_u32_f32_e32 v5, v5
	v_add_u32_e32 v11, v2, v3
	v_cvt_f32_u32_e32 v3, s48
	v_mul_f32_e32 v2, 0x4f7ffffe, v4
	v_cvt_u32_f32_e32 v2, v2
	s_mul_i32 s2, s22, s2
	v_rcp_iflag_f32_e32 v3, v3
	s_sub_i32 s44, s2, s12
	s_sub_i32 s2, 0, s43
	v_mul_lo_u32 v4, s2, v2
	v_mul_f32_e32 v3, 0x4f7ffffe, v3
	v_cvt_u32_f32_e32 v3, v3
	s_sub_i32 s2, 0, s48
	v_readfirstlane_b32 s3, v5
	s_ashr_i32 s50, s10, 31
	v_mul_lo_u32 v6, s2, v3
	s_sub_i32 s2, 0, s49
	s_mul_i32 s2, s2, s3
	s_mul_hi_u32 s2, s3, s2
	s_add_i32 s51, s3, s2
	s_mul_hi_u32 s3, s48, s51
	s_mul_i32 s4, s3, s49
	s_ashr_i32 s11, s11, 31
	s_sub_i32 s4, s48, s4
	s_waitcnt lgkmcnt(0)
	s_mul_i32 s45, s35, s34
	s_ashr_i32 s46, s14, 31
	s_ashr_i32 s47, s15, 31
	s_xor_b32 s2, s50, s11
	s_add_i32 s5, s3, 1
	s_sub_i32 s34, s4, s49
	s_cmp_ge_u32 s4, s49
	s_cselect_b32 s3, s5, s3
	s_cselect_b32 s4, s34, s4
	s_add_i32 s5, s3, 1
	s_cmp_ge_u32 s4, s49
	s_cselect_b32 s3, s5, s3
	s_abs_i32 s52, s23
	v_cvt_f32_u32_e32 v5, s52
	s_abs_i32 s53, s22
	v_mul_hi_u32 v4, v2, v4
	v_cvt_f32_u32_e32 v7, s53
	v_mul_hi_u32 v6, v3, v6
	v_rcp_iflag_f32_e32 v5, v5
	v_add_u32_e32 v12, v2, v4
	v_rcp_iflag_f32_e32 v2, v7
	v_add_u32_e32 v13, v3, v6
	v_mul_f32_e32 v3, 0x4f7ffffe, v5
	v_cvt_u32_f32_e32 v3, v3
	v_mul_f32_e32 v2, 0x4f7ffffe, v2
	v_cvt_u32_f32_e32 v2, v2
	s_sub_i32 s4, 0, s52
	v_mul_lo_u32 v4, s4, v3
	s_sub_i32 s4, 0, s53
	v_mul_lo_u32 v5, s4, v2
	s_xor_b32 s3, s3, s2
	v_mul_hi_u32 v4, v3, v4
	s_sub_i32 s54, s3, s2
	v_mul_hi_u32 v5, v2, v5
	s_ashr_i32 s55, s23, 31
	v_add_u32_e32 v14, v3, v4
	s_ashr_i32 s56, s22, 31
	v_add_u32_e32 v15, v2, v5
	v_cndmask_b32_e64 v2, 0, 1, s[0:1]
	s_sub_i32 s57, 0, s20
	s_sub_i32 s58, 0, s21
	s_mul_i32 s59, s23, s12
	s_mov_b64 s[4:5], 0
	v_cmp_ne_u32_e64 s[0:1], 1, v2
	s_branch .LBB3_4
.LBB3_2:                                ;   in Loop: Header=BB3_4 Depth=1
	s_or_b64 exec, exec, s[36:37]
.LBB3_3:                                ;   in Loop: Header=BB3_4 Depth=1
	s_or_b64 exec, exec, s[34:35]
	v_lshlrev_b64 v[2:3], 3, v[0:1]
	v_add_co_u32_e32 v0, vcc, s45, v0
	v_addc_co_u32_e32 v1, vcc, 0, v1, vcc
	v_cmp_le_i64_e32 vcc, s[6:7], v[0:1]
	v_mov_b32_e32 v4, s27
	v_add_co_u32_e64 v2, s[2:3], s26, v2
	v_addc_co_u32_e64 v3, s[2:3], v4, v3, s[2:3]
	s_or_b64 s[4:5], vcc, s[4:5]
	s_waitcnt vmcnt(0)
	global_store_dwordx2 v[2:3], v[7:8], off
	s_andn2_b64 exec, exec, s[4:5]
	s_cbranch_execz .LBB3_23
.LBB3_4:                                ; =>This Loop Header: Depth=1
                                        ;     Child Loop BB3_19 Depth 2
                                        ;       Child Loop BB3_21 Depth 3
	v_sub_u32_e32 v2, 0, v0
	v_max_i32_e32 v2, v0, v2
	v_mul_hi_u32 v3, v2, v11
	v_ashrrev_i32_e32 v5, 31, v0
	v_xor_b32_e32 v5, s46, v5
	s_mov_b32 s36, s10
	v_mul_lo_u32 v4, v3, s33
	v_add_u32_e32 v6, 1, v3
	v_sub_u32_e32 v2, v2, v4
	v_cmp_le_u32_e32 vcc, s33, v2
	v_subrev_u32_e32 v4, s33, v2
	v_cndmask_b32_e32 v3, v3, v6, vcc
	v_cndmask_b32_e32 v2, v2, v4, vcc
	v_add_u32_e32 v4, 1, v3
	v_cmp_le_u32_e32 vcc, s33, v2
	v_cndmask_b32_e32 v2, v3, v4, vcc
	v_xor_b32_e32 v2, v2, v5
	v_sub_u32_e32 v6, v2, v5
	v_sub_u32_e32 v2, 0, v6
	v_max_i32_e32 v2, v6, v2
	v_mul_hi_u32 v3, v2, v12
	v_ashrrev_i32_e32 v5, 31, v6
	v_xor_b32_e32 v5, s47, v5
	v_mul_lo_u32 v4, v3, s43
	v_add_u32_e32 v7, 1, v3
	v_sub_u32_e32 v2, v2, v4
	v_cmp_le_u32_e32 vcc, s43, v2
	v_subrev_u32_e32 v4, s43, v2
	v_cndmask_b32_e32 v3, v3, v7, vcc
	v_cndmask_b32_e32 v2, v2, v4, vcc
	v_add_u32_e32 v4, 1, v3
	v_cmp_le_u32_e32 vcc, s43, v2
	v_cndmask_b32_e32 v2, v3, v4, vcc
	v_xor_b32_e32 v2, v2, v5
	v_sub_u32_e32 v2, v2, v5
	v_sub_u32_e32 v3, 0, v2
	v_max_i32_e32 v3, v2, v3
	v_mul_hi_u32 v4, v3, v13
	v_ashrrev_i32_e32 v7, 31, v2
	v_xor_b32_e32 v7, s50, v7
	v_mul_lo_u32 v5, v4, s48
	v_add_u32_e32 v8, 1, v4
	v_sub_u32_e32 v3, v3, v5
	v_cmp_le_u32_e32 vcc, s48, v3
	v_subrev_u32_e32 v5, s48, v3
	v_cndmask_b32_e32 v4, v4, v8, vcc
	v_cndmask_b32_e32 v3, v3, v5, vcc
	v_add_u32_e32 v5, 1, v4
	v_cmp_le_u32_e32 vcc, s48, v3
	v_cndmask_b32_e32 v3, v4, v5, vcc
	v_xor_b32_e32 v3, v3, v7
	v_sub_u32_e32 v9, v3, v7
	v_mul_lo_u32 v3, v9, s10
	s_and_b64 vcc, exec, s[0:1]
	v_sub_u32_e32 v3, v2, v3
	v_ashrrev_i32_e32 v4, 31, v3
	v_mov_b32_e32 v5, v3
	s_cbranch_vccnz .LBB3_6
; %bb.5:                                ;   in Loop: Header=BB3_4 Depth=1
	v_sub_u32_e32 v5, 0, v3
	v_max_i32_e32 v5, v3, v5
	v_mul_hi_u32 v7, v5, s51
	v_xor_b32_e32 v10, s11, v4
	s_mov_b32 s36, s54
	v_mul_lo_u32 v8, v7, s49
	v_add_u32_e32 v16, 1, v7
	v_sub_u32_e32 v5, v5, v8
	v_cmp_le_u32_e32 vcc, s49, v5
	v_subrev_u32_e32 v8, s49, v5
	v_cndmask_b32_e32 v7, v7, v16, vcc
	v_cndmask_b32_e32 v5, v5, v8, vcc
	v_add_u32_e32 v8, 1, v7
	v_cmp_le_u32_e32 vcc, s49, v5
	v_cndmask_b32_e32 v5, v7, v8, vcc
	v_xor_b32_e32 v5, v5, v10
	v_sub_u32_e32 v5, v5, v10
.LBB3_6:                                ;   in Loop: Header=BB3_4 Depth=1
	v_mul_lo_u32 v2, v2, s15
	v_sub_u32_e32 v2, v6, v2
	v_mul_lo_u32 v10, v2, s19
	v_mov_b32_e32 v2, 0
	v_subrev_u32_e32 v7, s21, v10
	v_cmp_gt_i32_e32 vcc, 0, v7
	s_and_saveexec_b64 s[2:3], vcc
	s_cbranch_execz .LBB3_8
; %bb.7:                                ;   in Loop: Header=BB3_4 Depth=1
	v_sub_u32_e32 v2, 0, v7
	v_max_i32_e32 v8, v2, v7
	v_mul_hi_u32 v16, v8, v14
	v_ashrrev_i32_e32 v18, 31, v2
	v_xor_b32_e32 v18, s55, v18
	v_mul_lo_u32 v17, v16, s52
	v_add_u32_e32 v19, 1, v16
	v_sub_u32_e32 v8, v8, v17
	v_cmp_le_u32_e32 vcc, s52, v8
	v_subrev_u32_e32 v17, s52, v8
	v_cndmask_b32_e32 v16, v16, v19, vcc
	v_cndmask_b32_e32 v8, v8, v17, vcc
	v_add_u32_e32 v17, 1, v16
	v_cmp_le_u32_e32 vcc, s52, v8
	v_cndmask_b32_e32 v8, v16, v17, vcc
	v_xor_b32_e32 v8, v8, v18
	v_sub_u32_e32 v8, v8, v18
	v_mul_lo_u32 v16, v8, s23
	v_sub_u32_e32 v2, v2, v16
	v_cmp_ne_u32_e32 vcc, 0, v2
	v_addc_co_u32_e32 v2, vcc, 0, v8, vcc
.LBB3_8:                                ;   in Loop: Header=BB3_4 Depth=1
	s_or_b64 exec, exec, s[2:3]
	v_add_u32_e32 v7, s42, v7
	v_cmp_lt_i32_e32 vcc, -2, v7
	v_mov_b32_e32 v16, s17
	s_and_saveexec_b64 s[2:3], vcc
	s_cbranch_execz .LBB3_10
; %bb.9:                                ;   in Loop: Header=BB3_4 Depth=1
	v_add_u32_e32 v8, 1, v7
	v_not_b32_e32 v7, v7
	v_max_i32_e32 v7, v8, v7
	v_mul_hi_u32 v16, v7, v14
	v_ashrrev_i32_e32 v18, 31, v8
	v_xor_b32_e32 v18, s55, v18
	v_mul_lo_u32 v17, v16, s52
	v_add_u32_e32 v19, 1, v16
	v_sub_u32_e32 v7, v7, v17
	v_cmp_le_u32_e32 vcc, s52, v7
	v_subrev_u32_e32 v17, s52, v7
	v_cndmask_b32_e32 v16, v16, v19, vcc
	v_cndmask_b32_e32 v7, v7, v17, vcc
	v_add_u32_e32 v17, 1, v16
	v_cmp_le_u32_e32 vcc, s52, v7
	v_cndmask_b32_e32 v7, v16, v17, vcc
	v_xor_b32_e32 v7, v7, v18
	v_sub_u32_e32 v7, v7, v18
	v_mul_lo_u32 v16, v7, s23
	v_mov_b32_e32 v17, s17
	v_sub_u32_e32 v8, v8, v16
	v_cmp_ne_u32_e32 vcc, 0, v8
	v_subb_co_u32_e32 v16, vcc, v17, v7, vcc
.LBB3_10:                               ;   in Loop: Header=BB3_4 Depth=1
	s_or_b64 exec, exec, s[2:3]
	v_mul_lo_u32 v6, v6, s14
	v_sub_u32_e32 v6, v0, v6
	v_mul_lo_u32 v18, v6, s18
	v_mov_b32_e32 v6, 0
	v_subrev_u32_e32 v7, s20, v18
	v_cmp_gt_i32_e32 vcc, 0, v7
	s_and_saveexec_b64 s[2:3], vcc
	s_cbranch_execz .LBB3_12
; %bb.11:                               ;   in Loop: Header=BB3_4 Depth=1
	v_sub_u32_e32 v6, 0, v7
	v_max_i32_e32 v8, v6, v7
	v_mul_hi_u32 v17, v8, v15
	v_ashrrev_i32_e32 v20, 31, v6
	v_xor_b32_e32 v20, s56, v20
	v_mul_lo_u32 v19, v17, s53
	v_add_u32_e32 v21, 1, v17
	v_sub_u32_e32 v8, v8, v19
	v_cmp_le_u32_e32 vcc, s53, v8
	v_subrev_u32_e32 v19, s53, v8
	v_cndmask_b32_e32 v17, v17, v21, vcc
	v_cndmask_b32_e32 v8, v8, v19, vcc
	v_add_u32_e32 v19, 1, v17
	v_cmp_le_u32_e32 vcc, s53, v8
	v_cndmask_b32_e32 v8, v17, v19, vcc
	v_xor_b32_e32 v8, v8, v20
	v_sub_u32_e32 v8, v8, v20
	v_mul_lo_u32 v17, v8, s22
	v_sub_u32_e32 v6, v6, v17
	v_cmp_ne_u32_e32 vcc, 0, v6
	v_addc_co_u32_e32 v6, vcc, 0, v8, vcc
.LBB3_12:                               ;   in Loop: Header=BB3_4 Depth=1
	s_or_b64 exec, exec, s[2:3]
	v_add_u32_e32 v7, s44, v7
	v_cmp_lt_i32_e32 vcc, -2, v7
	v_mov_b32_e32 v17, s16
	s_and_saveexec_b64 s[2:3], vcc
	s_cbranch_execz .LBB3_14
; %bb.13:                               ;   in Loop: Header=BB3_4 Depth=1
	v_add_u32_e32 v8, 1, v7
	v_not_b32_e32 v7, v7
	v_max_i32_e32 v7, v8, v7
	v_mul_hi_u32 v17, v7, v15
	v_ashrrev_i32_e32 v20, 31, v8
	v_xor_b32_e32 v20, s56, v20
	v_mul_lo_u32 v19, v17, s53
	v_add_u32_e32 v21, 1, v17
	v_sub_u32_e32 v7, v7, v19
	v_cmp_le_u32_e32 vcc, s53, v7
	v_subrev_u32_e32 v19, s53, v7
	v_cndmask_b32_e32 v17, v17, v21, vcc
	v_cndmask_b32_e32 v7, v7, v19, vcc
	v_add_u32_e32 v19, 1, v17
	v_cmp_le_u32_e32 vcc, s53, v7
	v_cndmask_b32_e32 v7, v17, v19, vcc
	v_xor_b32_e32 v7, v7, v20
	v_sub_u32_e32 v7, v7, v20
	v_mul_lo_u32 v17, v7, s22
	v_mov_b32_e32 v19, s16
	v_sub_u32_e32 v8, v8, v17
	v_cmp_ne_u32_e32 vcc, 0, v8
	v_subb_co_u32_e32 v17, vcc, v19, v7, vcc
.LBB3_14:                               ;   in Loop: Header=BB3_4 Depth=1
	s_or_b64 exec, exec, s[2:3]
	v_mov_b32_e32 v7, 0
	v_mov_b32_e32 v8, 0
	s_andn2_b64 vcc, exec, s[8:9]
	s_cbranch_vccnz .LBB3_16
; %bb.15:                               ;   in Loop: Header=BB3_4 Depth=1
	v_lshlrev_b64 v[7:8], 3, v[3:4]
	v_mov_b32_e32 v4, s31
	v_add_co_u32_e32 v7, vcc, s30, v7
	v_addc_co_u32_e32 v8, vcc, v4, v8, vcc
	global_load_dwordx2 v[7:8], v[7:8], off
.LBB3_16:                               ;   in Loop: Header=BB3_4 Depth=1
	v_cmp_lt_i32_e32 vcc, v2, v16
	s_and_saveexec_b64 s[34:35], vcc
	s_cbranch_execz .LBB3_3
; %bb.17:                               ;   in Loop: Header=BB3_4 Depth=1
	v_mad_u64_u32 v[4:5], s[2:3], s36, v9, v[5:6]
	v_mul_lo_u32 v5, s23, v2
	v_mul_lo_u32 v19, s22, v6
	;; [unrolled: 1-line block ×3, first 2 shown]
	v_mad_u64_u32 v[3:4], s[2:3], v3, s17, v[2:3]
	v_add_u32_e32 v4, s58, v5
	v_add3_u32 v4, v4, v10, v9
	v_mul_lo_u32 v5, s12, v4
	s_waitcnt vmcnt(0)
	v_mad_u64_u32 v[3:4], s[2:3], s16, v3, v[6:7]
	v_add_u32_e32 v4, s57, v19
	v_cmp_lt_i32_e32 vcc, v6, v17
	v_add3_u32 v18, v4, v5, v18
	s_mov_b64 s[36:37], 0
	s_branch .LBB3_19
.LBB3_18:                               ;   in Loop: Header=BB3_19 Depth=2
	s_or_b64 exec, exec, s[38:39]
	v_add_u32_e32 v2, 1, v2
	v_cmp_ge_i32_e64 s[2:3], v2, v16
	v_add_u32_e32 v3, s16, v3
	s_or_b64 s[36:37], s[2:3], s[36:37]
	v_add_u32_e32 v18, s59, v18
	s_andn2_b64 exec, exec, s[36:37]
	s_cbranch_execz .LBB3_2
.LBB3_19:                               ;   Parent Loop BB3_4 Depth=1
                                        ; =>  This Loop Header: Depth=2
                                        ;       Child Loop BB3_21 Depth 3
	s_and_saveexec_b64 s[38:39], vcc
	s_cbranch_execz .LBB3_18
; %bb.20:                               ;   in Loop: Header=BB3_19 Depth=2
	v_ashrrev_i32_e32 v4, 31, v3
	v_lshlrev_b64 v[4:5], 3, v[3:4]
	v_mov_b32_e32 v9, s29
	v_add_co_u32_e64 v4, s[2:3], s28, v4
	v_addc_co_u32_e64 v5, s[2:3], v9, v5, s[2:3]
	s_mov_b64 s[40:41], 0
	v_mov_b32_e32 v9, v18
	v_mov_b32_e32 v19, v6
.LBB3_21:                               ;   Parent Loop BB3_4 Depth=1
                                        ;     Parent Loop BB3_19 Depth=2
                                        ; =>    This Inner Loop Header: Depth=3
	v_ashrrev_i32_e32 v10, 31, v9
	v_lshlrev_b64 v[22:23], 3, v[9:10]
	v_mov_b32_e32 v24, s25
	v_add_co_u32_e64 v22, s[2:3], s24, v22
	v_addc_co_u32_e64 v23, s[2:3], v24, v23, s[2:3]
	global_load_dwordx2 v[20:21], v[4:5], off
	v_add_co_u32_e64 v4, s[2:3], 8, v4
	global_load_dwordx2 v[22:23], v[22:23], off
	v_add_u32_e32 v19, 1, v19
	v_addc_co_u32_e64 v5, s[2:3], 0, v5, s[2:3]
	v_cmp_ge_i32_e64 s[2:3], v19, v17
	s_or_b64 s[40:41], s[2:3], s[40:41]
	v_add_u32_e32 v9, s22, v9
	s_waitcnt vmcnt(0)
	v_fma_f64 v[7:8], v[20:21], v[22:23], v[7:8]
	s_andn2_b64 exec, exec, s[40:41]
	s_cbranch_execnz .LBB3_21
; %bb.22:                               ;   in Loop: Header=BB3_19 Depth=2
	s_or_b64 exec, exec, s[40:41]
	s_branch .LBB3_18
.LBB3_23:
	s_endpgm
	.section	.rodata,"a",@progbits
	.p2align	6, 0x0
	.amdhsa_kernel _ZN2at6native12_GLOBAL__N_139conv_depthwise2d_forward_kernel_genericIdiEEvN5torch10headeronly6detail27GenericPackedTensorAccessorINS5_14TensorAccessorIN3c108ArrayRefIlEEKT_Lm3ENS4_16DefaultPtrTraitsEiEENS_6detail16IndexBoundsCheckILm4EiEESC_Lm4ESD_iEENS6_INS7_ISA_SB_Lm3ESD_iEESH_SB_Lm4ESD_iEESI_NS6_INS7_ISA_SC_Lm0ESD_iEENSG_ILm1EiEESC_Lm1ESD_iEEbT0_iiiiiiiiiiiiii
		.amdhsa_group_segment_fixed_size 0
		.amdhsa_private_segment_fixed_size 0
		.amdhsa_kernarg_size 456
		.amdhsa_user_sgpr_count 6
		.amdhsa_user_sgpr_private_segment_buffer 1
		.amdhsa_user_sgpr_dispatch_ptr 0
		.amdhsa_user_sgpr_queue_ptr 0
		.amdhsa_user_sgpr_kernarg_segment_ptr 1
		.amdhsa_user_sgpr_dispatch_id 0
		.amdhsa_user_sgpr_flat_scratch_init 0
		.amdhsa_user_sgpr_private_segment_size 0
		.amdhsa_uses_dynamic_stack 0
		.amdhsa_system_sgpr_private_segment_wavefront_offset 0
		.amdhsa_system_sgpr_workgroup_id_x 1
		.amdhsa_system_sgpr_workgroup_id_y 0
		.amdhsa_system_sgpr_workgroup_id_z 0
		.amdhsa_system_sgpr_workgroup_info 0
		.amdhsa_system_vgpr_workitem_id 0
		.amdhsa_next_free_vgpr 25
		.amdhsa_next_free_sgpr 60
		.amdhsa_reserve_vcc 1
		.amdhsa_reserve_flat_scratch 0
		.amdhsa_float_round_mode_32 0
		.amdhsa_float_round_mode_16_64 0
		.amdhsa_float_denorm_mode_32 3
		.amdhsa_float_denorm_mode_16_64 3
		.amdhsa_dx10_clamp 1
		.amdhsa_ieee_mode 1
		.amdhsa_fp16_overflow 0
		.amdhsa_exception_fp_ieee_invalid_op 0
		.amdhsa_exception_fp_denorm_src 0
		.amdhsa_exception_fp_ieee_div_zero 0
		.amdhsa_exception_fp_ieee_overflow 0
		.amdhsa_exception_fp_ieee_underflow 0
		.amdhsa_exception_fp_ieee_inexact 0
		.amdhsa_exception_int_div_zero 0
	.end_amdhsa_kernel
	.section	.text._ZN2at6native12_GLOBAL__N_139conv_depthwise2d_forward_kernel_genericIdiEEvN5torch10headeronly6detail27GenericPackedTensorAccessorINS5_14TensorAccessorIN3c108ArrayRefIlEEKT_Lm3ENS4_16DefaultPtrTraitsEiEENS_6detail16IndexBoundsCheckILm4EiEESC_Lm4ESD_iEENS6_INS7_ISA_SB_Lm3ESD_iEESH_SB_Lm4ESD_iEESI_NS6_INS7_ISA_SC_Lm0ESD_iEENSG_ILm1EiEESC_Lm1ESD_iEEbT0_iiiiiiiiiiiiii,"axG",@progbits,_ZN2at6native12_GLOBAL__N_139conv_depthwise2d_forward_kernel_genericIdiEEvN5torch10headeronly6detail27GenericPackedTensorAccessorINS5_14TensorAccessorIN3c108ArrayRefIlEEKT_Lm3ENS4_16DefaultPtrTraitsEiEENS_6detail16IndexBoundsCheckILm4EiEESC_Lm4ESD_iEENS6_INS7_ISA_SB_Lm3ESD_iEESH_SB_Lm4ESD_iEESI_NS6_INS7_ISA_SC_Lm0ESD_iEENSG_ILm1EiEESC_Lm1ESD_iEEbT0_iiiiiiiiiiiiii,comdat
.Lfunc_end3:
	.size	_ZN2at6native12_GLOBAL__N_139conv_depthwise2d_forward_kernel_genericIdiEEvN5torch10headeronly6detail27GenericPackedTensorAccessorINS5_14TensorAccessorIN3c108ArrayRefIlEEKT_Lm3ENS4_16DefaultPtrTraitsEiEENS_6detail16IndexBoundsCheckILm4EiEESC_Lm4ESD_iEENS6_INS7_ISA_SB_Lm3ESD_iEESH_SB_Lm4ESD_iEESI_NS6_INS7_ISA_SC_Lm0ESD_iEENSG_ILm1EiEESC_Lm1ESD_iEEbT0_iiiiiiiiiiiiii, .Lfunc_end3-_ZN2at6native12_GLOBAL__N_139conv_depthwise2d_forward_kernel_genericIdiEEvN5torch10headeronly6detail27GenericPackedTensorAccessorINS5_14TensorAccessorIN3c108ArrayRefIlEEKT_Lm3ENS4_16DefaultPtrTraitsEiEENS_6detail16IndexBoundsCheckILm4EiEESC_Lm4ESD_iEENS6_INS7_ISA_SB_Lm3ESD_iEESH_SB_Lm4ESD_iEESI_NS6_INS7_ISA_SC_Lm0ESD_iEENSG_ILm1EiEESC_Lm1ESD_iEEbT0_iiiiiiiiiiiiii
                                        ; -- End function
	.set _ZN2at6native12_GLOBAL__N_139conv_depthwise2d_forward_kernel_genericIdiEEvN5torch10headeronly6detail27GenericPackedTensorAccessorINS5_14TensorAccessorIN3c108ArrayRefIlEEKT_Lm3ENS4_16DefaultPtrTraitsEiEENS_6detail16IndexBoundsCheckILm4EiEESC_Lm4ESD_iEENS6_INS7_ISA_SB_Lm3ESD_iEESH_SB_Lm4ESD_iEESI_NS6_INS7_ISA_SC_Lm0ESD_iEENSG_ILm1EiEESC_Lm1ESD_iEEbT0_iiiiiiiiiiiiii.num_vgpr, 25
	.set _ZN2at6native12_GLOBAL__N_139conv_depthwise2d_forward_kernel_genericIdiEEvN5torch10headeronly6detail27GenericPackedTensorAccessorINS5_14TensorAccessorIN3c108ArrayRefIlEEKT_Lm3ENS4_16DefaultPtrTraitsEiEENS_6detail16IndexBoundsCheckILm4EiEESC_Lm4ESD_iEENS6_INS7_ISA_SB_Lm3ESD_iEESH_SB_Lm4ESD_iEESI_NS6_INS7_ISA_SC_Lm0ESD_iEENSG_ILm1EiEESC_Lm1ESD_iEEbT0_iiiiiiiiiiiiii.num_agpr, 0
	.set _ZN2at6native12_GLOBAL__N_139conv_depthwise2d_forward_kernel_genericIdiEEvN5torch10headeronly6detail27GenericPackedTensorAccessorINS5_14TensorAccessorIN3c108ArrayRefIlEEKT_Lm3ENS4_16DefaultPtrTraitsEiEENS_6detail16IndexBoundsCheckILm4EiEESC_Lm4ESD_iEENS6_INS7_ISA_SB_Lm3ESD_iEESH_SB_Lm4ESD_iEESI_NS6_INS7_ISA_SC_Lm0ESD_iEENSG_ILm1EiEESC_Lm1ESD_iEEbT0_iiiiiiiiiiiiii.numbered_sgpr, 60
	.set _ZN2at6native12_GLOBAL__N_139conv_depthwise2d_forward_kernel_genericIdiEEvN5torch10headeronly6detail27GenericPackedTensorAccessorINS5_14TensorAccessorIN3c108ArrayRefIlEEKT_Lm3ENS4_16DefaultPtrTraitsEiEENS_6detail16IndexBoundsCheckILm4EiEESC_Lm4ESD_iEENS6_INS7_ISA_SB_Lm3ESD_iEESH_SB_Lm4ESD_iEESI_NS6_INS7_ISA_SC_Lm0ESD_iEENSG_ILm1EiEESC_Lm1ESD_iEEbT0_iiiiiiiiiiiiii.num_named_barrier, 0
	.set _ZN2at6native12_GLOBAL__N_139conv_depthwise2d_forward_kernel_genericIdiEEvN5torch10headeronly6detail27GenericPackedTensorAccessorINS5_14TensorAccessorIN3c108ArrayRefIlEEKT_Lm3ENS4_16DefaultPtrTraitsEiEENS_6detail16IndexBoundsCheckILm4EiEESC_Lm4ESD_iEENS6_INS7_ISA_SB_Lm3ESD_iEESH_SB_Lm4ESD_iEESI_NS6_INS7_ISA_SC_Lm0ESD_iEENSG_ILm1EiEESC_Lm1ESD_iEEbT0_iiiiiiiiiiiiii.private_seg_size, 0
	.set _ZN2at6native12_GLOBAL__N_139conv_depthwise2d_forward_kernel_genericIdiEEvN5torch10headeronly6detail27GenericPackedTensorAccessorINS5_14TensorAccessorIN3c108ArrayRefIlEEKT_Lm3ENS4_16DefaultPtrTraitsEiEENS_6detail16IndexBoundsCheckILm4EiEESC_Lm4ESD_iEENS6_INS7_ISA_SB_Lm3ESD_iEESH_SB_Lm4ESD_iEESI_NS6_INS7_ISA_SC_Lm0ESD_iEENSG_ILm1EiEESC_Lm1ESD_iEEbT0_iiiiiiiiiiiiii.uses_vcc, 1
	.set _ZN2at6native12_GLOBAL__N_139conv_depthwise2d_forward_kernel_genericIdiEEvN5torch10headeronly6detail27GenericPackedTensorAccessorINS5_14TensorAccessorIN3c108ArrayRefIlEEKT_Lm3ENS4_16DefaultPtrTraitsEiEENS_6detail16IndexBoundsCheckILm4EiEESC_Lm4ESD_iEENS6_INS7_ISA_SB_Lm3ESD_iEESH_SB_Lm4ESD_iEESI_NS6_INS7_ISA_SC_Lm0ESD_iEENSG_ILm1EiEESC_Lm1ESD_iEEbT0_iiiiiiiiiiiiii.uses_flat_scratch, 0
	.set _ZN2at6native12_GLOBAL__N_139conv_depthwise2d_forward_kernel_genericIdiEEvN5torch10headeronly6detail27GenericPackedTensorAccessorINS5_14TensorAccessorIN3c108ArrayRefIlEEKT_Lm3ENS4_16DefaultPtrTraitsEiEENS_6detail16IndexBoundsCheckILm4EiEESC_Lm4ESD_iEENS6_INS7_ISA_SB_Lm3ESD_iEESH_SB_Lm4ESD_iEESI_NS6_INS7_ISA_SC_Lm0ESD_iEENSG_ILm1EiEESC_Lm1ESD_iEEbT0_iiiiiiiiiiiiii.has_dyn_sized_stack, 0
	.set _ZN2at6native12_GLOBAL__N_139conv_depthwise2d_forward_kernel_genericIdiEEvN5torch10headeronly6detail27GenericPackedTensorAccessorINS5_14TensorAccessorIN3c108ArrayRefIlEEKT_Lm3ENS4_16DefaultPtrTraitsEiEENS_6detail16IndexBoundsCheckILm4EiEESC_Lm4ESD_iEENS6_INS7_ISA_SB_Lm3ESD_iEESH_SB_Lm4ESD_iEESI_NS6_INS7_ISA_SC_Lm0ESD_iEENSG_ILm1EiEESC_Lm1ESD_iEEbT0_iiiiiiiiiiiiii.has_recursion, 0
	.set _ZN2at6native12_GLOBAL__N_139conv_depthwise2d_forward_kernel_genericIdiEEvN5torch10headeronly6detail27GenericPackedTensorAccessorINS5_14TensorAccessorIN3c108ArrayRefIlEEKT_Lm3ENS4_16DefaultPtrTraitsEiEENS_6detail16IndexBoundsCheckILm4EiEESC_Lm4ESD_iEENS6_INS7_ISA_SB_Lm3ESD_iEESH_SB_Lm4ESD_iEESI_NS6_INS7_ISA_SC_Lm0ESD_iEENSG_ILm1EiEESC_Lm1ESD_iEEbT0_iiiiiiiiiiiiii.has_indirect_call, 0
	.section	.AMDGPU.csdata,"",@progbits
; Kernel info:
; codeLenInByte = 1864
; TotalNumSgprs: 64
; NumVgprs: 25
; ScratchSize: 0
; MemoryBound: 0
; FloatMode: 240
; IeeeMode: 1
; LDSByteSize: 0 bytes/workgroup (compile time only)
; SGPRBlocks: 7
; VGPRBlocks: 6
; NumSGPRsForWavesPerEU: 64
; NumVGPRsForWavesPerEU: 25
; Occupancy: 9
; WaveLimiterHint : 0
; COMPUTE_PGM_RSRC2:SCRATCH_EN: 0
; COMPUTE_PGM_RSRC2:USER_SGPR: 6
; COMPUTE_PGM_RSRC2:TRAP_HANDLER: 0
; COMPUTE_PGM_RSRC2:TGID_X_EN: 1
; COMPUTE_PGM_RSRC2:TGID_Y_EN: 0
; COMPUTE_PGM_RSRC2:TGID_Z_EN: 0
; COMPUTE_PGM_RSRC2:TIDIG_COMP_CNT: 0
	.section	.text._ZN2at6native12_GLOBAL__N_131conv_depthwise2d_forward_kernelILi5EfiEEvN5torch10headeronly6detail27GenericPackedTensorAccessorINS5_14TensorAccessorIN3c108ArrayRefIlEEKT0_Lm3ENS4_16DefaultPtrTraitsEiEENS_6detail16IndexBoundsCheckILm4EiEESC_Lm4ESD_iEENS6_INS7_ISA_SB_Lm3ESD_iEESH_SB_Lm4ESD_iEESI_NS6_INS7_ISA_SC_Lm0ESD_iEENSG_ILm1EiEESC_Lm1ESD_iEEbT1_iiiiiiiiiiiiii,"axG",@progbits,_ZN2at6native12_GLOBAL__N_131conv_depthwise2d_forward_kernelILi5EfiEEvN5torch10headeronly6detail27GenericPackedTensorAccessorINS5_14TensorAccessorIN3c108ArrayRefIlEEKT0_Lm3ENS4_16DefaultPtrTraitsEiEENS_6detail16IndexBoundsCheckILm4EiEESC_Lm4ESD_iEENS6_INS7_ISA_SB_Lm3ESD_iEESH_SB_Lm4ESD_iEESI_NS6_INS7_ISA_SC_Lm0ESD_iEENSG_ILm1EiEESC_Lm1ESD_iEEbT1_iiiiiiiiiiiiii,comdat
	.globl	_ZN2at6native12_GLOBAL__N_131conv_depthwise2d_forward_kernelILi5EfiEEvN5torch10headeronly6detail27GenericPackedTensorAccessorINS5_14TensorAccessorIN3c108ArrayRefIlEEKT0_Lm3ENS4_16DefaultPtrTraitsEiEENS_6detail16IndexBoundsCheckILm4EiEESC_Lm4ESD_iEENS6_INS7_ISA_SB_Lm3ESD_iEESH_SB_Lm4ESD_iEESI_NS6_INS7_ISA_SC_Lm0ESD_iEENSG_ILm1EiEESC_Lm1ESD_iEEbT1_iiiiiiiiiiiiii ; -- Begin function _ZN2at6native12_GLOBAL__N_131conv_depthwise2d_forward_kernelILi5EfiEEvN5torch10headeronly6detail27GenericPackedTensorAccessorINS5_14TensorAccessorIN3c108ArrayRefIlEEKT0_Lm3ENS4_16DefaultPtrTraitsEiEENS_6detail16IndexBoundsCheckILm4EiEESC_Lm4ESD_iEENS6_INS7_ISA_SB_Lm3ESD_iEESH_SB_Lm4ESD_iEESI_NS6_INS7_ISA_SC_Lm0ESD_iEENSG_ILm1EiEESC_Lm1ESD_iEEbT1_iiiiiiiiiiiiii
	.p2align	8
	.type	_ZN2at6native12_GLOBAL__N_131conv_depthwise2d_forward_kernelILi5EfiEEvN5torch10headeronly6detail27GenericPackedTensorAccessorINS5_14TensorAccessorIN3c108ArrayRefIlEEKT0_Lm3ENS4_16DefaultPtrTraitsEiEENS_6detail16IndexBoundsCheckILm4EiEESC_Lm4ESD_iEENS6_INS7_ISA_SB_Lm3ESD_iEESH_SB_Lm4ESD_iEESI_NS6_INS7_ISA_SC_Lm0ESD_iEENSG_ILm1EiEESC_Lm1ESD_iEEbT1_iiiiiiiiiiiiii,@function
_ZN2at6native12_GLOBAL__N_131conv_depthwise2d_forward_kernelILi5EfiEEvN5torch10headeronly6detail27GenericPackedTensorAccessorINS5_14TensorAccessorIN3c108ArrayRefIlEEKT0_Lm3ENS4_16DefaultPtrTraitsEiEENS_6detail16IndexBoundsCheckILm4EiEESC_Lm4ESD_iEENS6_INS7_ISA_SB_Lm3ESD_iEESH_SB_Lm4ESD_iEESI_NS6_INS7_ISA_SC_Lm0ESD_iEENSG_ILm1EiEESC_Lm1ESD_iEEbT1_iiiiiiiiiiiiii: ; @_ZN2at6native12_GLOBAL__N_131conv_depthwise2d_forward_kernelILi5EfiEEvN5torch10headeronly6detail27GenericPackedTensorAccessorINS5_14TensorAccessorIN3c108ArrayRefIlEEKT0_Lm3ENS4_16DefaultPtrTraitsEiEENS_6detail16IndexBoundsCheckILm4EiEESC_Lm4ESD_iEENS6_INS7_ISA_SB_Lm3ESD_iEESH_SB_Lm4ESD_iEESI_NS6_INS7_ISA_SC_Lm0ESD_iEENSG_ILm1EiEESC_Lm1ESD_iEEbT1_iiiiiiiiiiiiii
; %bb.0:
	s_load_dword s0, s[4:5], 0xd4
	s_load_dwordx16 s[8:23], s[4:5], 0x88
	s_add_u32 s2, s4, 0xc8
	s_addc_u32 s3, s5, 0
	v_mov_b32_e32 v7, 0
	s_waitcnt lgkmcnt(0)
	s_and_b32 s7, s0, 0xffff
	s_mul_hi_u32 s33, s7, s6
	s_mul_i32 s40, s7, s6
	v_mov_b32_e32 v2, s33
	v_add_co_u32_e32 v1, vcc, s40, v0
	v_addc_co_u32_e32 v2, vcc, 0, v2, vcc
	s_ashr_i32 s25, s9, 31
	s_mov_b32 s24, s9
	v_cmp_gt_i64_e32 vcc, s[24:25], v[1:2]
	s_and_saveexec_b64 s[0:1], vcc
	s_cbranch_execz .LBB4_107
; %bb.1:
	s_bitcmp1_b32 s8, 0
	s_cselect_b64 s[8:9], -1, 0
	s_cmp_lg_u32 s11, 1
	s_cselect_b64 s[0:1], -1, 0
	s_abs_i32 s41, s14
	v_cvt_f32_u32_e32 v3, s41
	s_abs_i32 s43, s15
	v_cvt_f32_u32_e32 v4, s43
	s_load_dwordx2 s[26:27], s[4:5], 0x0
	s_load_dwordx2 s[34:35], s[4:5], 0x28
	;; [unrolled: 1-line block ×4, first 2 shown]
	s_load_dword s6, s[2:3], 0x0
	v_rcp_iflag_f32_e32 v3, v3
	s_sub_i32 s2, 0, s41
	v_rcp_iflag_f32_e32 v4, v4
	s_abs_i32 s44, s10
	v_mul_f32_e32 v3, 0x4f7ffffe, v3
	v_cvt_u32_f32_e32 v3, v3
	v_cvt_f32_u32_e32 v6, s44
	v_mul_f32_e32 v4, 0x4f7ffffe, v4
	v_cvt_u32_f32_e32 v4, v4
	v_mul_lo_u32 v5, s2, v3
	v_rcp_iflag_f32_e32 v6, v6
	s_sub_i32 s2, 0, s43
	s_abs_i32 s46, s11
	v_mul_hi_u32 v5, v3, v5
	v_mul_lo_u32 v9, s2, v4
	s_sub_i32 s2, 0, s44
	s_ashr_i32 s48, s10, 31
	v_add_u32_e32 v8, v3, v5
	v_mul_f32_e32 v5, 0x4f7ffffe, v6
	v_cvt_f32_u32_e32 v6, s46
	v_mul_hi_u32 v3, v4, v9
	v_cvt_u32_f32_e32 v5, v5
	s_ashr_i32 s11, s11, 31
	v_rcp_iflag_f32_e32 v6, v6
	v_add_u32_e32 v9, v4, v3
	v_mul_lo_u32 v10, s2, v5
	s_sub_i32 s2, 0, s46
	v_mul_f32_e32 v4, 0x4f7ffffe, v6
	v_cvt_u32_f32_e32 v4, v4
	s_mul_i32 s42, s17, s16
	s_waitcnt lgkmcnt(0)
	s_mul_i32 s16, s6, s7
	s_ashr_i32 s45, s14, 31
	v_readfirstlane_b32 s3, v4
	s_mul_i32 s2, s2, s3
	s_mul_hi_u32 s2, s3, s2
	s_add_i32 s49, s3, s2
	s_mul_hi_u32 s3, s44, s49
	s_mul_i32 s4, s3, s46
	s_sub_i32 s4, s44, s4
	s_ashr_i32 s47, s15, 31
	s_xor_b32 s2, s48, s11
	s_add_i32 s5, s3, 1
	s_sub_i32 s6, s4, s46
	v_mul_hi_u32 v3, v5, v10
	s_cmp_ge_u32 s4, s46
	s_cselect_b32 s3, s5, s3
	s_cselect_b32 s4, s6, s4
	s_add_i32 s5, s3, 1
	v_lshlrev_b64 v[1:2], 2, v[1:2]
	s_cmp_ge_u32 s4, s46
	v_add_u32_e32 v10, v5, v3
	s_cselect_b32 s3, s5, s3
	v_mov_b32_e32 v3, s35
	v_add_co_u32_e32 v1, vcc, s34, v1
	s_mov_b32 s17, 0
	s_xor_b32 s3, s3, s2
	v_addc_co_u32_e32 v2, vcc, v3, v2, vcc
	v_cndmask_b32_e64 v3, 0, 1, s[0:1]
	s_sub_i32 s50, s3, s2
	s_lshl_b64 s[34:35], s[16:17], 2
	s_sub_i32 s14, 0, s14
	s_mov_b64 s[36:37], 0
	v_cmp_ne_u32_e64 s[0:1], 1, v3
	s_branch .LBB4_4
.LBB4_2:                                ;   in Loop: Header=BB4_4 Depth=1
	s_or_b64 exec, exec, s[2:3]
.LBB4_3:                                ;   in Loop: Header=BB4_4 Depth=1
	s_or_b64 exec, exec, s[6:7]
	v_add_co_u32_e32 v0, vcc, s16, v0
	v_addc_co_u32_e32 v7, vcc, 0, v7, vcc
	v_mov_b32_e32 v4, s33
	v_add_co_u32_e32 v3, vcc, s40, v0
	v_addc_co_u32_e32 v4, vcc, v4, v7, vcc
	v_cmp_le_i64_e32 vcc, s[24:25], v[3:4]
	s_waitcnt vmcnt(0)
	global_store_dword v[1:2], v11, off
	v_mov_b32_e32 v3, s35
	s_or_b64 s[36:37], vcc, s[36:37]
	v_add_co_u32_e32 v1, vcc, s34, v1
	v_addc_co_u32_e32 v2, vcc, v2, v3, vcc
	s_andn2_b64 exec, exec, s[36:37]
	s_cbranch_execz .LBB4_107
.LBB4_4:                                ; =>This Inner Loop Header: Depth=1
	v_add_co_u32_e32 v3, vcc, s40, v0
	v_sub_u32_e32 v4, 0, v3
	v_max_i32_e32 v4, v3, v4
	v_mul_hi_u32 v5, v4, v8
	v_ashrrev_i32_e32 v11, 31, v3
	v_xor_b32_e32 v11, s45, v11
	s_mov_b32 s2, s10
	v_mul_lo_u32 v6, v5, s41
	v_add_u32_e32 v12, 1, v5
	v_sub_u32_e32 v4, v4, v6
	v_cmp_le_u32_e32 vcc, s41, v4
	v_subrev_u32_e32 v6, s41, v4
	v_cndmask_b32_e32 v5, v5, v12, vcc
	v_cndmask_b32_e32 v4, v4, v6, vcc
	v_add_u32_e32 v6, 1, v5
	v_cmp_le_u32_e32 vcc, s41, v4
	v_cndmask_b32_e32 v4, v5, v6, vcc
	v_xor_b32_e32 v4, v4, v11
	v_sub_u32_e32 v12, v4, v11
	v_sub_u32_e32 v4, 0, v12
	v_max_i32_e32 v4, v12, v4
	v_mul_hi_u32 v5, v4, v9
	v_ashrrev_i32_e32 v11, 31, v12
	v_xor_b32_e32 v11, s47, v11
	v_mul_lo_u32 v6, v5, s43
	v_add_u32_e32 v13, 1, v5
	v_sub_u32_e32 v4, v4, v6
	v_cmp_le_u32_e32 vcc, s43, v4
	v_subrev_u32_e32 v6, s43, v4
	v_cndmask_b32_e32 v5, v5, v13, vcc
	v_cndmask_b32_e32 v4, v4, v6, vcc
	v_add_u32_e32 v6, 1, v5
	v_cmp_le_u32_e32 vcc, s43, v4
	v_cndmask_b32_e32 v4, v5, v6, vcc
	v_xor_b32_e32 v4, v4, v11
	v_sub_u32_e32 v13, v4, v11
	v_sub_u32_e32 v4, 0, v13
	v_max_i32_e32 v4, v13, v4
	v_mul_hi_u32 v5, v4, v10
	v_ashrrev_i32_e32 v11, 31, v13
	v_xor_b32_e32 v11, s48, v11
	v_mul_lo_u32 v6, v5, s44
	v_add_u32_e32 v14, 1, v5
	v_sub_u32_e32 v4, v4, v6
	v_cmp_le_u32_e32 vcc, s44, v4
	v_subrev_u32_e32 v6, s44, v4
	v_cndmask_b32_e32 v5, v5, v14, vcc
	v_cndmask_b32_e32 v4, v4, v6, vcc
	v_add_u32_e32 v6, 1, v5
	v_cmp_le_u32_e32 vcc, s44, v4
	v_cndmask_b32_e32 v4, v5, v6, vcc
	v_xor_b32_e32 v4, v4, v11
	v_sub_u32_e32 v14, v4, v11
	v_mul_lo_u32 v4, v14, s10
	s_and_b64 vcc, exec, s[0:1]
	v_sub_u32_e32 v4, v13, v4
	v_ashrrev_i32_e32 v5, 31, v4
	v_mov_b32_e32 v6, v4
	s_cbranch_vccnz .LBB4_6
; %bb.5:                                ;   in Loop: Header=BB4_4 Depth=1
	v_sub_u32_e32 v6, 0, v4
	v_max_i32_e32 v6, v4, v6
	v_mul_hi_u32 v11, v6, s49
	v_xor_b32_e32 v16, s11, v5
	s_mov_b32 s2, s50
	v_mul_lo_u32 v15, v11, s46
	v_add_u32_e32 v17, 1, v11
	v_sub_u32_e32 v6, v6, v15
	v_cmp_le_u32_e32 vcc, s46, v6
	v_subrev_u32_e32 v15, s46, v6
	v_cndmask_b32_e32 v11, v11, v17, vcc
	v_cndmask_b32_e32 v6, v6, v15, vcc
	v_add_u32_e32 v15, 1, v11
	v_cmp_le_u32_e32 vcc, s46, v6
	v_cndmask_b32_e32 v6, v11, v15, vcc
	v_xor_b32_e32 v6, v6, v16
	v_sub_u32_e32 v6, v6, v16
.LBB4_6:                                ;   in Loop: Header=BB4_4 Depth=1
	s_andn2_b64 vcc, exec, s[8:9]
	v_mov_b32_e32 v11, 0
	s_cbranch_vccnz .LBB4_8
; %bb.7:                                ;   in Loop: Header=BB4_4 Depth=1
	v_lshlrev_b64 v[15:16], 2, v[4:5]
	v_mov_b32_e32 v5, s31
	v_add_co_u32_e32 v15, vcc, s30, v15
	v_addc_co_u32_e32 v16, vcc, v5, v16, vcc
	global_load_dword v11, v[15:16], off
.LBB4_8:                                ;   in Loop: Header=BB4_4 Depth=1
	v_mul_lo_u32 v15, v13, s15
	v_mad_u64_u32 v[5:6], s[2:3], s2, v14, v[6:7]
	v_mad_u64_u32 v[13:14], s[2:3], s14, v12, v[3:4]
	v_sub_u32_e32 v3, v12, v15
	v_mul_lo_u32 v6, v3, s19
	v_mul_lo_u32 v15, v5, s13
	;; [unrolled: 1-line block ×4, first 2 shown]
	v_subrev_u32_e32 v16, s21, v6
	v_add_u32_e32 v5, v16, v15
	v_mul_lo_u32 v17, v5, s12
	v_subrev_u32_e32 v5, s20, v4
	v_cmp_lt_i32_e64 s[2:3], -1, v16
	v_cmp_gt_i32_e32 vcc, s13, v16
	s_and_saveexec_b64 s[38:39], s[2:3]
	s_cbranch_execnz .LBB4_13
; %bb.9:                                ;   in Loop: Header=BB4_4 Depth=1
	s_or_b64 exec, exec, s[38:39]
	v_add_u32_e32 v6, s22, v5
	s_and_saveexec_b64 s[38:39], s[2:3]
	s_cbranch_execnz .LBB4_16
.LBB4_10:                               ;   in Loop: Header=BB4_4 Depth=1
	s_or_b64 exec, exec, s[38:39]
	v_add_u32_e32 v12, s22, v6
	s_and_saveexec_b64 s[38:39], s[2:3]
	s_cbranch_execnz .LBB4_19
.LBB4_11:                               ;   in Loop: Header=BB4_4 Depth=1
	s_or_b64 exec, exec, s[38:39]
	v_add_u32_e32 v13, s22, v12
	s_and_saveexec_b64 s[38:39], s[2:3]
	s_cbranch_execnz .LBB4_22
.LBB4_12:                               ;   in Loop: Header=BB4_4 Depth=1
	s_or_b64 exec, exec, s[38:39]
	v_add_u32_e32 v14, s22, v13
	s_and_saveexec_b64 s[6:7], s[2:3]
	s_cbranch_execnz .LBB4_25
	s_branch .LBB4_28
.LBB4_13:                               ;   in Loop: Header=BB4_4 Depth=1
	v_cmp_lt_i32_e64 s[4:5], -1, v5
	v_cmp_gt_i32_e64 s[6:7], s12, v5
	s_and_b64 s[4:5], s[4:5], s[6:7]
	s_and_b64 s[4:5], vcc, s[4:5]
	s_and_saveexec_b64 s[6:7], s[4:5]
	s_cbranch_execz .LBB4_15
; %bb.14:                               ;   in Loop: Header=BB4_4 Depth=1
	v_ashrrev_i32_e32 v4, 31, v3
	v_lshlrev_b64 v[13:14], 2, v[3:4]
	v_mov_b32_e32 v4, s29
	v_add_co_u32_e64 v13, s[4:5], s28, v13
	v_add_u32_e32 v12, v5, v17
	v_addc_co_u32_e64 v14, s[4:5], v4, v14, s[4:5]
	global_load_dword v4, v[13:14], off
	v_ashrrev_i32_e32 v13, 31, v12
	v_lshlrev_b64 v[12:13], 2, v[12:13]
	v_mov_b32_e32 v6, s27
	v_add_co_u32_e64 v12, s[4:5], s26, v12
	v_addc_co_u32_e64 v13, s[4:5], v6, v13, s[4:5]
	global_load_dword v6, v[12:13], off
	s_waitcnt vmcnt(0)
	v_fmac_f32_e32 v11, v4, v6
.LBB4_15:                               ;   in Loop: Header=BB4_4 Depth=1
	s_or_b64 exec, exec, s[6:7]
	s_or_b64 exec, exec, s[38:39]
	v_add_u32_e32 v6, s22, v5
	s_and_saveexec_b64 s[38:39], s[2:3]
	s_cbranch_execz .LBB4_10
.LBB4_16:                               ;   in Loop: Header=BB4_4 Depth=1
	v_cmp_lt_i32_e64 s[4:5], -1, v6
	v_cmp_gt_i32_e64 s[6:7], s12, v6
	s_and_b64 s[4:5], s[4:5], s[6:7]
	s_and_b64 s[4:5], vcc, s[4:5]
	s_and_saveexec_b64 s[6:7], s[4:5]
	s_cbranch_execz .LBB4_18
; %bb.17:                               ;   in Loop: Header=BB4_4 Depth=1
	v_ashrrev_i32_e32 v4, 31, v3
	v_lshlrev_b64 v[13:14], 2, v[3:4]
	v_mov_b32_e32 v4, s29
	v_add_co_u32_e64 v13, s[4:5], s28, v13
	v_add_u32_e32 v12, v6, v17
	v_addc_co_u32_e64 v14, s[4:5], v4, v14, s[4:5]
	global_load_dword v4, v[13:14], off offset:4
	v_ashrrev_i32_e32 v13, 31, v12
	v_lshlrev_b64 v[12:13], 2, v[12:13]
	v_mov_b32_e32 v14, s27
	v_add_co_u32_e64 v12, s[4:5], s26, v12
	v_addc_co_u32_e64 v13, s[4:5], v14, v13, s[4:5]
	global_load_dword v12, v[12:13], off
	s_waitcnt vmcnt(0)
	v_fmac_f32_e32 v11, v4, v12
.LBB4_18:                               ;   in Loop: Header=BB4_4 Depth=1
	s_or_b64 exec, exec, s[6:7]
	s_or_b64 exec, exec, s[38:39]
	v_add_u32_e32 v12, s22, v6
	s_and_saveexec_b64 s[38:39], s[2:3]
	s_cbranch_execz .LBB4_11
.LBB4_19:                               ;   in Loop: Header=BB4_4 Depth=1
	v_cmp_lt_i32_e64 s[4:5], -1, v12
	v_cmp_gt_i32_e64 s[6:7], s12, v12
	s_and_b64 s[4:5], s[4:5], s[6:7]
	s_and_b64 s[4:5], vcc, s[4:5]
	s_and_saveexec_b64 s[6:7], s[4:5]
	s_cbranch_execz .LBB4_21
; %bb.20:                               ;   in Loop: Header=BB4_4 Depth=1
	v_ashrrev_i32_e32 v4, 31, v3
	v_add_u32_e32 v13, v12, v17
	v_lshlrev_b64 v[18:19], 2, v[3:4]
	v_ashrrev_i32_e32 v14, 31, v13
	v_mov_b32_e32 v4, s29
	v_add_co_u32_e64 v18, s[4:5], s28, v18
	v_lshlrev_b64 v[13:14], 2, v[13:14]
	v_addc_co_u32_e64 v19, s[4:5], v4, v19, s[4:5]
	global_load_dword v4, v[18:19], off offset:8
	v_mov_b32_e32 v18, s27
	v_add_co_u32_e64 v13, s[4:5], s26, v13
	v_addc_co_u32_e64 v14, s[4:5], v18, v14, s[4:5]
	global_load_dword v13, v[13:14], off
	s_waitcnt vmcnt(0)
	v_fmac_f32_e32 v11, v4, v13
.LBB4_21:                               ;   in Loop: Header=BB4_4 Depth=1
	s_or_b64 exec, exec, s[6:7]
	s_or_b64 exec, exec, s[38:39]
	v_add_u32_e32 v13, s22, v12
	s_and_saveexec_b64 s[38:39], s[2:3]
	s_cbranch_execz .LBB4_12
.LBB4_22:                               ;   in Loop: Header=BB4_4 Depth=1
	v_cmp_lt_i32_e64 s[4:5], -1, v13
	v_cmp_gt_i32_e64 s[6:7], s12, v13
	s_and_b64 s[4:5], s[4:5], s[6:7]
	s_and_b64 s[4:5], vcc, s[4:5]
	s_and_saveexec_b64 s[6:7], s[4:5]
	s_cbranch_execz .LBB4_24
; %bb.23:                               ;   in Loop: Header=BB4_4 Depth=1
	v_ashrrev_i32_e32 v4, 31, v3
	v_lshlrev_b64 v[19:20], 2, v[3:4]
	v_mov_b32_e32 v4, s29
	v_add_co_u32_e64 v19, s[4:5], s28, v19
	v_add_u32_e32 v18, v13, v17
	v_addc_co_u32_e64 v20, s[4:5], v4, v20, s[4:5]
	global_load_dword v4, v[19:20], off offset:12
	v_ashrrev_i32_e32 v19, 31, v18
	v_lshlrev_b64 v[18:19], 2, v[18:19]
	v_mov_b32_e32 v14, s27
	v_add_co_u32_e64 v18, s[4:5], s26, v18
	v_addc_co_u32_e64 v19, s[4:5], v14, v19, s[4:5]
	global_load_dword v14, v[18:19], off
	s_waitcnt vmcnt(0)
	v_fmac_f32_e32 v11, v4, v14
.LBB4_24:                               ;   in Loop: Header=BB4_4 Depth=1
	s_or_b64 exec, exec, s[6:7]
	s_or_b64 exec, exec, s[38:39]
	v_add_u32_e32 v14, s22, v13
	s_and_saveexec_b64 s[6:7], s[2:3]
	s_cbranch_execz .LBB4_28
.LBB4_25:                               ;   in Loop: Header=BB4_4 Depth=1
	v_cmp_lt_i32_e64 s[2:3], -1, v14
	v_cmp_gt_i32_e64 s[4:5], s12, v14
	s_and_b64 s[2:3], s[2:3], s[4:5]
	s_and_b64 s[4:5], vcc, s[2:3]
	s_and_saveexec_b64 s[2:3], s[4:5]
	s_cbranch_execz .LBB4_27
; %bb.26:                               ;   in Loop: Header=BB4_4 Depth=1
	v_ashrrev_i32_e32 v4, 31, v3
	v_lshlrev_b64 v[18:19], 2, v[3:4]
	v_mov_b32_e32 v4, s29
	v_add_co_u32_e32 v18, vcc, s28, v18
	v_add_u32_e32 v17, v14, v17
	v_addc_co_u32_e32 v19, vcc, v4, v19, vcc
	global_load_dword v4, v[18:19], off offset:16
	v_ashrrev_i32_e32 v18, 31, v17
	v_lshlrev_b64 v[17:18], 2, v[17:18]
	v_mov_b32_e32 v19, s27
	v_add_co_u32_e32 v17, vcc, s26, v17
	v_addc_co_u32_e32 v18, vcc, v19, v18, vcc
	global_load_dword v17, v[17:18], off
	s_waitcnt vmcnt(0)
	v_fmac_f32_e32 v11, v4, v17
.LBB4_27:                               ;   in Loop: Header=BB4_4 Depth=1
	s_or_b64 exec, exec, s[2:3]
.LBB4_28:                               ;   in Loop: Header=BB4_4 Depth=1
	s_or_b64 exec, exec, s[6:7]
	v_add_u32_e32 v16, s23, v16
	v_add_u32_e32 v4, v16, v15
	v_mul_lo_u32 v17, v4, s12
	v_cmp_lt_i32_e64 s[2:3], -1, v16
	v_cmp_gt_i32_e32 vcc, s13, v16
	s_and_saveexec_b64 s[38:39], s[2:3]
	s_cbranch_execnz .LBB4_33
; %bb.29:                               ;   in Loop: Header=BB4_4 Depth=1
	s_or_b64 exec, exec, s[38:39]
	s_and_saveexec_b64 s[38:39], s[2:3]
	s_cbranch_execnz .LBB4_36
.LBB4_30:                               ;   in Loop: Header=BB4_4 Depth=1
	s_or_b64 exec, exec, s[38:39]
	s_and_saveexec_b64 s[38:39], s[2:3]
	s_cbranch_execnz .LBB4_39
.LBB4_31:                               ;   in Loop: Header=BB4_4 Depth=1
	s_or_b64 exec, exec, s[38:39]
	s_and_saveexec_b64 s[38:39], s[2:3]
	s_cbranch_execnz .LBB4_42
.LBB4_32:                               ;   in Loop: Header=BB4_4 Depth=1
	s_or_b64 exec, exec, s[38:39]
	s_and_saveexec_b64 s[6:7], s[2:3]
	s_cbranch_execnz .LBB4_45
	s_branch .LBB4_48
.LBB4_33:                               ;   in Loop: Header=BB4_4 Depth=1
	v_cmp_lt_i32_e64 s[4:5], -1, v5
	v_cmp_gt_i32_e64 s[6:7], s12, v5
	s_and_b64 s[4:5], s[4:5], s[6:7]
	s_and_b64 s[4:5], vcc, s[4:5]
	s_and_saveexec_b64 s[6:7], s[4:5]
	s_cbranch_execz .LBB4_35
; %bb.34:                               ;   in Loop: Header=BB4_4 Depth=1
	v_ashrrev_i32_e32 v4, 31, v3
	v_lshlrev_b64 v[19:20], 2, v[3:4]
	v_mov_b32_e32 v4, s29
	v_add_co_u32_e64 v19, s[4:5], s28, v19
	v_add_u32_e32 v18, v5, v17
	v_addc_co_u32_e64 v20, s[4:5], v4, v20, s[4:5]
	global_load_dword v4, v[19:20], off offset:20
	v_ashrrev_i32_e32 v19, 31, v18
	v_lshlrev_b64 v[18:19], 2, v[18:19]
	v_mov_b32_e32 v20, s27
	v_add_co_u32_e64 v18, s[4:5], s26, v18
	v_addc_co_u32_e64 v19, s[4:5], v20, v19, s[4:5]
	global_load_dword v18, v[18:19], off
	s_waitcnt vmcnt(0)
	v_fmac_f32_e32 v11, v4, v18
.LBB4_35:                               ;   in Loop: Header=BB4_4 Depth=1
	s_or_b64 exec, exec, s[6:7]
	s_or_b64 exec, exec, s[38:39]
	s_and_saveexec_b64 s[38:39], s[2:3]
	s_cbranch_execz .LBB4_30
.LBB4_36:                               ;   in Loop: Header=BB4_4 Depth=1
	v_cmp_lt_i32_e64 s[4:5], -1, v6
	v_cmp_gt_i32_e64 s[6:7], s12, v6
	s_and_b64 s[4:5], s[4:5], s[6:7]
	s_and_b64 s[4:5], vcc, s[4:5]
	s_and_saveexec_b64 s[6:7], s[4:5]
	s_cbranch_execz .LBB4_38
; %bb.37:                               ;   in Loop: Header=BB4_4 Depth=1
	v_ashrrev_i32_e32 v4, 31, v3
	v_lshlrev_b64 v[19:20], 2, v[3:4]
	v_mov_b32_e32 v4, s29
	v_add_co_u32_e64 v19, s[4:5], s28, v19
	v_add_u32_e32 v18, v6, v17
	v_addc_co_u32_e64 v20, s[4:5], v4, v20, s[4:5]
	global_load_dword v4, v[19:20], off offset:24
	v_ashrrev_i32_e32 v19, 31, v18
	v_lshlrev_b64 v[18:19], 2, v[18:19]
	v_mov_b32_e32 v20, s27
	v_add_co_u32_e64 v18, s[4:5], s26, v18
	v_addc_co_u32_e64 v19, s[4:5], v20, v19, s[4:5]
	global_load_dword v18, v[18:19], off
	s_waitcnt vmcnt(0)
	v_fmac_f32_e32 v11, v4, v18
.LBB4_38:                               ;   in Loop: Header=BB4_4 Depth=1
	s_or_b64 exec, exec, s[6:7]
	s_or_b64 exec, exec, s[38:39]
	s_and_saveexec_b64 s[38:39], s[2:3]
	s_cbranch_execz .LBB4_31
.LBB4_39:                               ;   in Loop: Header=BB4_4 Depth=1
	v_cmp_lt_i32_e64 s[4:5], -1, v12
	v_cmp_gt_i32_e64 s[6:7], s12, v12
	s_and_b64 s[4:5], s[4:5], s[6:7]
	s_and_b64 s[4:5], vcc, s[4:5]
	s_and_saveexec_b64 s[6:7], s[4:5]
	s_cbranch_execz .LBB4_41
; %bb.40:                               ;   in Loop: Header=BB4_4 Depth=1
	v_ashrrev_i32_e32 v4, 31, v3
	v_lshlrev_b64 v[19:20], 2, v[3:4]
	v_mov_b32_e32 v4, s29
	v_add_co_u32_e64 v19, s[4:5], s28, v19
	v_add_u32_e32 v18, v12, v17
	v_addc_co_u32_e64 v20, s[4:5], v4, v20, s[4:5]
	global_load_dword v4, v[19:20], off offset:28
	v_ashrrev_i32_e32 v19, 31, v18
	v_lshlrev_b64 v[18:19], 2, v[18:19]
	v_mov_b32_e32 v20, s27
	v_add_co_u32_e64 v18, s[4:5], s26, v18
	v_addc_co_u32_e64 v19, s[4:5], v20, v19, s[4:5]
	global_load_dword v18, v[18:19], off
	s_waitcnt vmcnt(0)
	v_fmac_f32_e32 v11, v4, v18
.LBB4_41:                               ;   in Loop: Header=BB4_4 Depth=1
	s_or_b64 exec, exec, s[6:7]
	s_or_b64 exec, exec, s[38:39]
	s_and_saveexec_b64 s[38:39], s[2:3]
	s_cbranch_execz .LBB4_32
.LBB4_42:                               ;   in Loop: Header=BB4_4 Depth=1
	v_cmp_lt_i32_e64 s[4:5], -1, v13
	v_cmp_gt_i32_e64 s[6:7], s12, v13
	s_and_b64 s[4:5], s[4:5], s[6:7]
	s_and_b64 s[4:5], vcc, s[4:5]
	s_and_saveexec_b64 s[6:7], s[4:5]
	s_cbranch_execz .LBB4_44
; %bb.43:                               ;   in Loop: Header=BB4_4 Depth=1
	v_ashrrev_i32_e32 v4, 31, v3
	v_lshlrev_b64 v[19:20], 2, v[3:4]
	v_mov_b32_e32 v4, s29
	v_add_co_u32_e64 v19, s[4:5], s28, v19
	v_add_u32_e32 v18, v13, v17
	v_addc_co_u32_e64 v20, s[4:5], v4, v20, s[4:5]
	global_load_dword v4, v[19:20], off offset:32
	v_ashrrev_i32_e32 v19, 31, v18
	v_lshlrev_b64 v[18:19], 2, v[18:19]
	v_mov_b32_e32 v20, s27
	v_add_co_u32_e64 v18, s[4:5], s26, v18
	v_addc_co_u32_e64 v19, s[4:5], v20, v19, s[4:5]
	global_load_dword v18, v[18:19], off
	s_waitcnt vmcnt(0)
	v_fmac_f32_e32 v11, v4, v18
.LBB4_44:                               ;   in Loop: Header=BB4_4 Depth=1
	s_or_b64 exec, exec, s[6:7]
	s_or_b64 exec, exec, s[38:39]
	s_and_saveexec_b64 s[6:7], s[2:3]
	s_cbranch_execz .LBB4_48
.LBB4_45:                               ;   in Loop: Header=BB4_4 Depth=1
	v_cmp_lt_i32_e64 s[2:3], -1, v14
	v_cmp_gt_i32_e64 s[4:5], s12, v14
	s_and_b64 s[2:3], s[2:3], s[4:5]
	s_and_b64 s[4:5], vcc, s[2:3]
	s_and_saveexec_b64 s[2:3], s[4:5]
	s_cbranch_execz .LBB4_47
; %bb.46:                               ;   in Loop: Header=BB4_4 Depth=1
	v_ashrrev_i32_e32 v4, 31, v3
	v_lshlrev_b64 v[18:19], 2, v[3:4]
	v_mov_b32_e32 v4, s29
	v_add_co_u32_e32 v18, vcc, s28, v18
	v_add_u32_e32 v17, v14, v17
	v_addc_co_u32_e32 v19, vcc, v4, v19, vcc
	global_load_dword v4, v[18:19], off offset:36
	v_ashrrev_i32_e32 v18, 31, v17
	v_lshlrev_b64 v[17:18], 2, v[17:18]
	v_mov_b32_e32 v19, s27
	v_add_co_u32_e32 v17, vcc, s26, v17
	v_addc_co_u32_e32 v18, vcc, v19, v18, vcc
	global_load_dword v17, v[17:18], off
	s_waitcnt vmcnt(0)
	v_fmac_f32_e32 v11, v4, v17
.LBB4_47:                               ;   in Loop: Header=BB4_4 Depth=1
	s_or_b64 exec, exec, s[2:3]
.LBB4_48:                               ;   in Loop: Header=BB4_4 Depth=1
	s_or_b64 exec, exec, s[6:7]
	v_add_u32_e32 v16, s23, v16
	v_add_u32_e32 v4, v16, v15
	v_mul_lo_u32 v17, v4, s12
	v_cmp_lt_i32_e64 s[2:3], -1, v16
	v_cmp_gt_i32_e32 vcc, s13, v16
	s_and_saveexec_b64 s[38:39], s[2:3]
	s_cbranch_execnz .LBB4_53
; %bb.49:                               ;   in Loop: Header=BB4_4 Depth=1
	s_or_b64 exec, exec, s[38:39]
	s_and_saveexec_b64 s[38:39], s[2:3]
	s_cbranch_execnz .LBB4_56
.LBB4_50:                               ;   in Loop: Header=BB4_4 Depth=1
	s_or_b64 exec, exec, s[38:39]
	s_and_saveexec_b64 s[38:39], s[2:3]
	s_cbranch_execnz .LBB4_59
.LBB4_51:                               ;   in Loop: Header=BB4_4 Depth=1
	s_or_b64 exec, exec, s[38:39]
	s_and_saveexec_b64 s[38:39], s[2:3]
	s_cbranch_execnz .LBB4_62
.LBB4_52:                               ;   in Loop: Header=BB4_4 Depth=1
	s_or_b64 exec, exec, s[38:39]
	s_and_saveexec_b64 s[6:7], s[2:3]
	s_cbranch_execnz .LBB4_65
	s_branch .LBB4_68
.LBB4_53:                               ;   in Loop: Header=BB4_4 Depth=1
	v_cmp_lt_i32_e64 s[4:5], -1, v5
	v_cmp_gt_i32_e64 s[6:7], s12, v5
	s_and_b64 s[4:5], s[4:5], s[6:7]
	s_and_b64 s[4:5], vcc, s[4:5]
	s_and_saveexec_b64 s[6:7], s[4:5]
	s_cbranch_execz .LBB4_55
; %bb.54:                               ;   in Loop: Header=BB4_4 Depth=1
	v_ashrrev_i32_e32 v4, 31, v3
	v_lshlrev_b64 v[19:20], 2, v[3:4]
	v_mov_b32_e32 v4, s29
	v_add_co_u32_e64 v19, s[4:5], s28, v19
	v_add_u32_e32 v18, v5, v17
	v_addc_co_u32_e64 v20, s[4:5], v4, v20, s[4:5]
	global_load_dword v4, v[19:20], off offset:40
	v_ashrrev_i32_e32 v19, 31, v18
	v_lshlrev_b64 v[18:19], 2, v[18:19]
	v_mov_b32_e32 v20, s27
	v_add_co_u32_e64 v18, s[4:5], s26, v18
	v_addc_co_u32_e64 v19, s[4:5], v20, v19, s[4:5]
	global_load_dword v18, v[18:19], off
	s_waitcnt vmcnt(0)
	v_fmac_f32_e32 v11, v4, v18
.LBB4_55:                               ;   in Loop: Header=BB4_4 Depth=1
	s_or_b64 exec, exec, s[6:7]
	s_or_b64 exec, exec, s[38:39]
	s_and_saveexec_b64 s[38:39], s[2:3]
	s_cbranch_execz .LBB4_50
.LBB4_56:                               ;   in Loop: Header=BB4_4 Depth=1
	v_cmp_lt_i32_e64 s[4:5], -1, v6
	v_cmp_gt_i32_e64 s[6:7], s12, v6
	s_and_b64 s[4:5], s[4:5], s[6:7]
	s_and_b64 s[4:5], vcc, s[4:5]
	s_and_saveexec_b64 s[6:7], s[4:5]
	s_cbranch_execz .LBB4_58
; %bb.57:                               ;   in Loop: Header=BB4_4 Depth=1
	v_ashrrev_i32_e32 v4, 31, v3
	v_lshlrev_b64 v[19:20], 2, v[3:4]
	v_mov_b32_e32 v4, s29
	v_add_co_u32_e64 v19, s[4:5], s28, v19
	v_add_u32_e32 v18, v6, v17
	v_addc_co_u32_e64 v20, s[4:5], v4, v20, s[4:5]
	global_load_dword v4, v[19:20], off offset:44
	v_ashrrev_i32_e32 v19, 31, v18
	v_lshlrev_b64 v[18:19], 2, v[18:19]
	v_mov_b32_e32 v20, s27
	v_add_co_u32_e64 v18, s[4:5], s26, v18
	v_addc_co_u32_e64 v19, s[4:5], v20, v19, s[4:5]
	global_load_dword v18, v[18:19], off
	s_waitcnt vmcnt(0)
	v_fmac_f32_e32 v11, v4, v18
.LBB4_58:                               ;   in Loop: Header=BB4_4 Depth=1
	s_or_b64 exec, exec, s[6:7]
	s_or_b64 exec, exec, s[38:39]
	s_and_saveexec_b64 s[38:39], s[2:3]
	s_cbranch_execz .LBB4_51
.LBB4_59:                               ;   in Loop: Header=BB4_4 Depth=1
	v_cmp_lt_i32_e64 s[4:5], -1, v12
	v_cmp_gt_i32_e64 s[6:7], s12, v12
	s_and_b64 s[4:5], s[4:5], s[6:7]
	s_and_b64 s[4:5], vcc, s[4:5]
	s_and_saveexec_b64 s[6:7], s[4:5]
	s_cbranch_execz .LBB4_61
; %bb.60:                               ;   in Loop: Header=BB4_4 Depth=1
	v_ashrrev_i32_e32 v4, 31, v3
	v_lshlrev_b64 v[19:20], 2, v[3:4]
	v_mov_b32_e32 v4, s29
	v_add_co_u32_e64 v19, s[4:5], s28, v19
	v_add_u32_e32 v18, v12, v17
	v_addc_co_u32_e64 v20, s[4:5], v4, v20, s[4:5]
	global_load_dword v4, v[19:20], off offset:48
	v_ashrrev_i32_e32 v19, 31, v18
	v_lshlrev_b64 v[18:19], 2, v[18:19]
	v_mov_b32_e32 v20, s27
	v_add_co_u32_e64 v18, s[4:5], s26, v18
	v_addc_co_u32_e64 v19, s[4:5], v20, v19, s[4:5]
	global_load_dword v18, v[18:19], off
	s_waitcnt vmcnt(0)
	v_fmac_f32_e32 v11, v4, v18
.LBB4_61:                               ;   in Loop: Header=BB4_4 Depth=1
	s_or_b64 exec, exec, s[6:7]
	s_or_b64 exec, exec, s[38:39]
	s_and_saveexec_b64 s[38:39], s[2:3]
	s_cbranch_execz .LBB4_52
.LBB4_62:                               ;   in Loop: Header=BB4_4 Depth=1
	v_cmp_lt_i32_e64 s[4:5], -1, v13
	v_cmp_gt_i32_e64 s[6:7], s12, v13
	s_and_b64 s[4:5], s[4:5], s[6:7]
	s_and_b64 s[4:5], vcc, s[4:5]
	s_and_saveexec_b64 s[6:7], s[4:5]
	s_cbranch_execz .LBB4_64
; %bb.63:                               ;   in Loop: Header=BB4_4 Depth=1
	v_ashrrev_i32_e32 v4, 31, v3
	v_lshlrev_b64 v[19:20], 2, v[3:4]
	v_mov_b32_e32 v4, s29
	v_add_co_u32_e64 v19, s[4:5], s28, v19
	v_add_u32_e32 v18, v13, v17
	v_addc_co_u32_e64 v20, s[4:5], v4, v20, s[4:5]
	global_load_dword v4, v[19:20], off offset:52
	v_ashrrev_i32_e32 v19, 31, v18
	v_lshlrev_b64 v[18:19], 2, v[18:19]
	v_mov_b32_e32 v20, s27
	v_add_co_u32_e64 v18, s[4:5], s26, v18
	v_addc_co_u32_e64 v19, s[4:5], v20, v19, s[4:5]
	global_load_dword v18, v[18:19], off
	s_waitcnt vmcnt(0)
	v_fmac_f32_e32 v11, v4, v18
.LBB4_64:                               ;   in Loop: Header=BB4_4 Depth=1
	s_or_b64 exec, exec, s[6:7]
	s_or_b64 exec, exec, s[38:39]
	s_and_saveexec_b64 s[6:7], s[2:3]
	s_cbranch_execz .LBB4_68
.LBB4_65:                               ;   in Loop: Header=BB4_4 Depth=1
	v_cmp_lt_i32_e64 s[2:3], -1, v14
	v_cmp_gt_i32_e64 s[4:5], s12, v14
	s_and_b64 s[2:3], s[2:3], s[4:5]
	s_and_b64 s[4:5], vcc, s[2:3]
	s_and_saveexec_b64 s[2:3], s[4:5]
	s_cbranch_execz .LBB4_67
; %bb.66:                               ;   in Loop: Header=BB4_4 Depth=1
	v_ashrrev_i32_e32 v4, 31, v3
	v_lshlrev_b64 v[18:19], 2, v[3:4]
	v_mov_b32_e32 v4, s29
	v_add_co_u32_e32 v18, vcc, s28, v18
	v_add_u32_e32 v17, v14, v17
	v_addc_co_u32_e32 v19, vcc, v4, v19, vcc
	global_load_dword v4, v[18:19], off offset:56
	v_ashrrev_i32_e32 v18, 31, v17
	v_lshlrev_b64 v[17:18], 2, v[17:18]
	v_mov_b32_e32 v19, s27
	v_add_co_u32_e32 v17, vcc, s26, v17
	v_addc_co_u32_e32 v18, vcc, v19, v18, vcc
	global_load_dword v17, v[17:18], off
	s_waitcnt vmcnt(0)
	v_fmac_f32_e32 v11, v4, v17
.LBB4_67:                               ;   in Loop: Header=BB4_4 Depth=1
	s_or_b64 exec, exec, s[2:3]
.LBB4_68:                               ;   in Loop: Header=BB4_4 Depth=1
	s_or_b64 exec, exec, s[6:7]
	v_add_u32_e32 v16, s23, v16
	v_add_u32_e32 v4, v16, v15
	v_mul_lo_u32 v17, v4, s12
	v_cmp_lt_i32_e64 s[2:3], -1, v16
	v_cmp_gt_i32_e32 vcc, s13, v16
	s_and_saveexec_b64 s[38:39], s[2:3]
	s_cbranch_execnz .LBB4_73
; %bb.69:                               ;   in Loop: Header=BB4_4 Depth=1
	s_or_b64 exec, exec, s[38:39]
	s_and_saveexec_b64 s[38:39], s[2:3]
	s_cbranch_execnz .LBB4_76
.LBB4_70:                               ;   in Loop: Header=BB4_4 Depth=1
	s_or_b64 exec, exec, s[38:39]
	s_and_saveexec_b64 s[38:39], s[2:3]
	s_cbranch_execnz .LBB4_79
.LBB4_71:                               ;   in Loop: Header=BB4_4 Depth=1
	s_or_b64 exec, exec, s[38:39]
	s_and_saveexec_b64 s[38:39], s[2:3]
	s_cbranch_execnz .LBB4_82
.LBB4_72:                               ;   in Loop: Header=BB4_4 Depth=1
	s_or_b64 exec, exec, s[38:39]
	s_and_saveexec_b64 s[6:7], s[2:3]
	s_cbranch_execnz .LBB4_85
	s_branch .LBB4_88
.LBB4_73:                               ;   in Loop: Header=BB4_4 Depth=1
	v_cmp_lt_i32_e64 s[4:5], -1, v5
	v_cmp_gt_i32_e64 s[6:7], s12, v5
	s_and_b64 s[4:5], s[4:5], s[6:7]
	s_and_b64 s[4:5], vcc, s[4:5]
	s_and_saveexec_b64 s[6:7], s[4:5]
	s_cbranch_execz .LBB4_75
; %bb.74:                               ;   in Loop: Header=BB4_4 Depth=1
	v_ashrrev_i32_e32 v4, 31, v3
	v_lshlrev_b64 v[19:20], 2, v[3:4]
	v_mov_b32_e32 v4, s29
	v_add_co_u32_e64 v19, s[4:5], s28, v19
	v_add_u32_e32 v18, v5, v17
	v_addc_co_u32_e64 v20, s[4:5], v4, v20, s[4:5]
	global_load_dword v4, v[19:20], off offset:60
	v_ashrrev_i32_e32 v19, 31, v18
	v_lshlrev_b64 v[18:19], 2, v[18:19]
	v_mov_b32_e32 v20, s27
	v_add_co_u32_e64 v18, s[4:5], s26, v18
	v_addc_co_u32_e64 v19, s[4:5], v20, v19, s[4:5]
	global_load_dword v18, v[18:19], off
	s_waitcnt vmcnt(0)
	v_fmac_f32_e32 v11, v4, v18
.LBB4_75:                               ;   in Loop: Header=BB4_4 Depth=1
	s_or_b64 exec, exec, s[6:7]
	s_or_b64 exec, exec, s[38:39]
	s_and_saveexec_b64 s[38:39], s[2:3]
	s_cbranch_execz .LBB4_70
.LBB4_76:                               ;   in Loop: Header=BB4_4 Depth=1
	v_cmp_lt_i32_e64 s[4:5], -1, v6
	v_cmp_gt_i32_e64 s[6:7], s12, v6
	s_and_b64 s[4:5], s[4:5], s[6:7]
	s_and_b64 s[4:5], vcc, s[4:5]
	s_and_saveexec_b64 s[6:7], s[4:5]
	s_cbranch_execz .LBB4_78
; %bb.77:                               ;   in Loop: Header=BB4_4 Depth=1
	v_ashrrev_i32_e32 v4, 31, v3
	v_lshlrev_b64 v[19:20], 2, v[3:4]
	v_mov_b32_e32 v4, s29
	v_add_co_u32_e64 v19, s[4:5], s28, v19
	v_add_u32_e32 v18, v6, v17
	v_addc_co_u32_e64 v20, s[4:5], v4, v20, s[4:5]
	global_load_dword v4, v[19:20], off offset:64
	v_ashrrev_i32_e32 v19, 31, v18
	v_lshlrev_b64 v[18:19], 2, v[18:19]
	v_mov_b32_e32 v20, s27
	v_add_co_u32_e64 v18, s[4:5], s26, v18
	v_addc_co_u32_e64 v19, s[4:5], v20, v19, s[4:5]
	global_load_dword v18, v[18:19], off
	s_waitcnt vmcnt(0)
	v_fmac_f32_e32 v11, v4, v18
.LBB4_78:                               ;   in Loop: Header=BB4_4 Depth=1
	s_or_b64 exec, exec, s[6:7]
	s_or_b64 exec, exec, s[38:39]
	s_and_saveexec_b64 s[38:39], s[2:3]
	s_cbranch_execz .LBB4_71
.LBB4_79:                               ;   in Loop: Header=BB4_4 Depth=1
	v_cmp_lt_i32_e64 s[4:5], -1, v12
	v_cmp_gt_i32_e64 s[6:7], s12, v12
	s_and_b64 s[4:5], s[4:5], s[6:7]
	s_and_b64 s[4:5], vcc, s[4:5]
	s_and_saveexec_b64 s[6:7], s[4:5]
	s_cbranch_execz .LBB4_81
; %bb.80:                               ;   in Loop: Header=BB4_4 Depth=1
	v_ashrrev_i32_e32 v4, 31, v3
	v_lshlrev_b64 v[19:20], 2, v[3:4]
	v_mov_b32_e32 v4, s29
	v_add_co_u32_e64 v19, s[4:5], s28, v19
	v_add_u32_e32 v18, v12, v17
	v_addc_co_u32_e64 v20, s[4:5], v4, v20, s[4:5]
	global_load_dword v4, v[19:20], off offset:68
	v_ashrrev_i32_e32 v19, 31, v18
	v_lshlrev_b64 v[18:19], 2, v[18:19]
	v_mov_b32_e32 v20, s27
	v_add_co_u32_e64 v18, s[4:5], s26, v18
	v_addc_co_u32_e64 v19, s[4:5], v20, v19, s[4:5]
	global_load_dword v18, v[18:19], off
	s_waitcnt vmcnt(0)
	v_fmac_f32_e32 v11, v4, v18
.LBB4_81:                               ;   in Loop: Header=BB4_4 Depth=1
	s_or_b64 exec, exec, s[6:7]
	s_or_b64 exec, exec, s[38:39]
	s_and_saveexec_b64 s[38:39], s[2:3]
	s_cbranch_execz .LBB4_72
.LBB4_82:                               ;   in Loop: Header=BB4_4 Depth=1
	v_cmp_lt_i32_e64 s[4:5], -1, v13
	v_cmp_gt_i32_e64 s[6:7], s12, v13
	s_and_b64 s[4:5], s[4:5], s[6:7]
	s_and_b64 s[4:5], vcc, s[4:5]
	s_and_saveexec_b64 s[6:7], s[4:5]
	s_cbranch_execz .LBB4_84
; %bb.83:                               ;   in Loop: Header=BB4_4 Depth=1
	v_ashrrev_i32_e32 v4, 31, v3
	v_lshlrev_b64 v[19:20], 2, v[3:4]
	v_mov_b32_e32 v4, s29
	v_add_co_u32_e64 v19, s[4:5], s28, v19
	v_add_u32_e32 v18, v13, v17
	v_addc_co_u32_e64 v20, s[4:5], v4, v20, s[4:5]
	global_load_dword v4, v[19:20], off offset:72
	v_ashrrev_i32_e32 v19, 31, v18
	v_lshlrev_b64 v[18:19], 2, v[18:19]
	v_mov_b32_e32 v20, s27
	v_add_co_u32_e64 v18, s[4:5], s26, v18
	v_addc_co_u32_e64 v19, s[4:5], v20, v19, s[4:5]
	global_load_dword v18, v[18:19], off
	s_waitcnt vmcnt(0)
	v_fmac_f32_e32 v11, v4, v18
.LBB4_84:                               ;   in Loop: Header=BB4_4 Depth=1
	s_or_b64 exec, exec, s[6:7]
	s_or_b64 exec, exec, s[38:39]
	s_and_saveexec_b64 s[6:7], s[2:3]
	s_cbranch_execz .LBB4_88
.LBB4_85:                               ;   in Loop: Header=BB4_4 Depth=1
	v_cmp_lt_i32_e64 s[2:3], -1, v14
	v_cmp_gt_i32_e64 s[4:5], s12, v14
	s_and_b64 s[2:3], s[2:3], s[4:5]
	s_and_b64 s[4:5], vcc, s[2:3]
	s_and_saveexec_b64 s[2:3], s[4:5]
	s_cbranch_execz .LBB4_87
; %bb.86:                               ;   in Loop: Header=BB4_4 Depth=1
	v_ashrrev_i32_e32 v4, 31, v3
	v_lshlrev_b64 v[18:19], 2, v[3:4]
	v_mov_b32_e32 v4, s29
	v_add_co_u32_e32 v18, vcc, s28, v18
	v_add_u32_e32 v17, v14, v17
	v_addc_co_u32_e32 v19, vcc, v4, v19, vcc
	global_load_dword v4, v[18:19], off offset:76
	v_ashrrev_i32_e32 v18, 31, v17
	v_lshlrev_b64 v[17:18], 2, v[17:18]
	v_mov_b32_e32 v19, s27
	v_add_co_u32_e32 v17, vcc, s26, v17
	v_addc_co_u32_e32 v18, vcc, v19, v18, vcc
	global_load_dword v17, v[17:18], off
	s_waitcnt vmcnt(0)
	v_fmac_f32_e32 v11, v4, v17
.LBB4_87:                               ;   in Loop: Header=BB4_4 Depth=1
	s_or_b64 exec, exec, s[2:3]
.LBB4_88:                               ;   in Loop: Header=BB4_4 Depth=1
	s_or_b64 exec, exec, s[6:7]
	v_add_u32_e32 v4, s23, v16
	v_add_u32_e32 v15, v4, v15
	v_mul_lo_u32 v15, v15, s12
	v_cmp_lt_i32_e64 s[2:3], -1, v4
	v_cmp_gt_i32_e32 vcc, s13, v4
	s_and_saveexec_b64 s[38:39], s[2:3]
	s_cbranch_execnz .LBB4_93
; %bb.89:                               ;   in Loop: Header=BB4_4 Depth=1
	s_or_b64 exec, exec, s[38:39]
	s_and_saveexec_b64 s[38:39], s[2:3]
	s_cbranch_execnz .LBB4_96
.LBB4_90:                               ;   in Loop: Header=BB4_4 Depth=1
	s_or_b64 exec, exec, s[38:39]
	s_and_saveexec_b64 s[38:39], s[2:3]
	s_cbranch_execnz .LBB4_99
.LBB4_91:                               ;   in Loop: Header=BB4_4 Depth=1
	s_or_b64 exec, exec, s[38:39]
	s_and_saveexec_b64 s[38:39], s[2:3]
	s_cbranch_execnz .LBB4_102
.LBB4_92:                               ;   in Loop: Header=BB4_4 Depth=1
	s_or_b64 exec, exec, s[38:39]
	s_and_saveexec_b64 s[6:7], s[2:3]
	s_cbranch_execz .LBB4_3
	s_branch .LBB4_105
.LBB4_93:                               ;   in Loop: Header=BB4_4 Depth=1
	v_cmp_lt_i32_e64 s[4:5], -1, v5
	v_cmp_gt_i32_e64 s[6:7], s12, v5
	s_and_b64 s[4:5], s[4:5], s[6:7]
	s_and_b64 s[4:5], vcc, s[4:5]
	s_and_saveexec_b64 s[6:7], s[4:5]
	s_cbranch_execz .LBB4_95
; %bb.94:                               ;   in Loop: Header=BB4_4 Depth=1
	v_ashrrev_i32_e32 v4, 31, v3
	v_add_u32_e32 v16, v5, v15
	v_lshlrev_b64 v[4:5], 2, v[3:4]
	v_mov_b32_e32 v17, s29
	v_add_co_u32_e64 v4, s[4:5], s28, v4
	v_addc_co_u32_e64 v5, s[4:5], v17, v5, s[4:5]
	v_ashrrev_i32_e32 v17, 31, v16
	global_load_dword v18, v[4:5], off offset:80
	v_lshlrev_b64 v[4:5], 2, v[16:17]
	v_mov_b32_e32 v16, s27
	v_add_co_u32_e64 v4, s[4:5], s26, v4
	v_addc_co_u32_e64 v5, s[4:5], v16, v5, s[4:5]
	global_load_dword v4, v[4:5], off
	s_waitcnt vmcnt(0)
	v_fmac_f32_e32 v11, v18, v4
.LBB4_95:                               ;   in Loop: Header=BB4_4 Depth=1
	s_or_b64 exec, exec, s[6:7]
	s_or_b64 exec, exec, s[38:39]
	s_and_saveexec_b64 s[38:39], s[2:3]
	s_cbranch_execz .LBB4_90
.LBB4_96:                               ;   in Loop: Header=BB4_4 Depth=1
	v_cmp_lt_i32_e64 s[4:5], -1, v6
	v_cmp_gt_i32_e64 s[6:7], s12, v6
	s_and_b64 s[4:5], s[4:5], s[6:7]
	s_and_b64 s[4:5], vcc, s[4:5]
	s_and_saveexec_b64 s[6:7], s[4:5]
	s_cbranch_execz .LBB4_98
; %bb.97:                               ;   in Loop: Header=BB4_4 Depth=1
	v_ashrrev_i32_e32 v4, 31, v3
	v_lshlrev_b64 v[16:17], 2, v[3:4]
	v_add_u32_e32 v5, v6, v15
	v_mov_b32_e32 v4, s29
	v_add_co_u32_e64 v16, s[4:5], s28, v16
	v_ashrrev_i32_e32 v6, 31, v5
	v_addc_co_u32_e64 v17, s[4:5], v4, v17, s[4:5]
	v_lshlrev_b64 v[4:5], 2, v[5:6]
	v_mov_b32_e32 v6, s27
	v_add_co_u32_e64 v4, s[4:5], s26, v4
	v_addc_co_u32_e64 v5, s[4:5], v6, v5, s[4:5]
	global_load_dword v16, v[16:17], off offset:84
	s_nop 0
	global_load_dword v4, v[4:5], off
	s_waitcnt vmcnt(0)
	v_fmac_f32_e32 v11, v16, v4
.LBB4_98:                               ;   in Loop: Header=BB4_4 Depth=1
	s_or_b64 exec, exec, s[6:7]
	s_or_b64 exec, exec, s[38:39]
	s_and_saveexec_b64 s[38:39], s[2:3]
	s_cbranch_execz .LBB4_91
.LBB4_99:                               ;   in Loop: Header=BB4_4 Depth=1
	v_cmp_lt_i32_e64 s[4:5], -1, v12
	v_cmp_gt_i32_e64 s[6:7], s12, v12
	s_and_b64 s[4:5], s[4:5], s[6:7]
	s_and_b64 s[4:5], vcc, s[4:5]
	s_and_saveexec_b64 s[6:7], s[4:5]
	s_cbranch_execz .LBB4_101
; %bb.100:                              ;   in Loop: Header=BB4_4 Depth=1
	v_ashrrev_i32_e32 v4, 31, v3
	v_lshlrev_b64 v[16:17], 2, v[3:4]
	v_add_u32_e32 v5, v12, v15
	v_mov_b32_e32 v4, s29
	v_add_co_u32_e64 v16, s[4:5], s28, v16
	v_ashrrev_i32_e32 v6, 31, v5
	v_addc_co_u32_e64 v17, s[4:5], v4, v17, s[4:5]
	v_lshlrev_b64 v[4:5], 2, v[5:6]
	v_mov_b32_e32 v6, s27
	v_add_co_u32_e64 v4, s[4:5], s26, v4
	v_addc_co_u32_e64 v5, s[4:5], v6, v5, s[4:5]
	global_load_dword v12, v[16:17], off offset:88
	s_nop 0
	global_load_dword v4, v[4:5], off
	s_waitcnt vmcnt(0)
	v_fmac_f32_e32 v11, v12, v4
.LBB4_101:                              ;   in Loop: Header=BB4_4 Depth=1
	s_or_b64 exec, exec, s[6:7]
	s_or_b64 exec, exec, s[38:39]
	s_and_saveexec_b64 s[38:39], s[2:3]
	s_cbranch_execz .LBB4_92
.LBB4_102:                              ;   in Loop: Header=BB4_4 Depth=1
	v_cmp_lt_i32_e64 s[4:5], -1, v13
	v_cmp_gt_i32_e64 s[6:7], s12, v13
	s_and_b64 s[4:5], s[4:5], s[6:7]
	s_and_b64 s[4:5], vcc, s[4:5]
	s_and_saveexec_b64 s[6:7], s[4:5]
	s_cbranch_execz .LBB4_104
; %bb.103:                              ;   in Loop: Header=BB4_4 Depth=1
	v_ashrrev_i32_e32 v4, 31, v3
	v_add_u32_e32 v5, v13, v15
	v_lshlrev_b64 v[12:13], 2, v[3:4]
	v_mov_b32_e32 v4, s29
	v_add_co_u32_e64 v12, s[4:5], s28, v12
	v_ashrrev_i32_e32 v6, 31, v5
	v_addc_co_u32_e64 v13, s[4:5], v4, v13, s[4:5]
	v_lshlrev_b64 v[4:5], 2, v[5:6]
	v_mov_b32_e32 v6, s27
	v_add_co_u32_e64 v4, s[4:5], s26, v4
	v_addc_co_u32_e64 v5, s[4:5], v6, v5, s[4:5]
	global_load_dword v12, v[12:13], off offset:92
	s_nop 0
	global_load_dword v4, v[4:5], off
	s_waitcnt vmcnt(0)
	v_fmac_f32_e32 v11, v12, v4
.LBB4_104:                              ;   in Loop: Header=BB4_4 Depth=1
	s_or_b64 exec, exec, s[6:7]
	s_or_b64 exec, exec, s[38:39]
	s_and_saveexec_b64 s[6:7], s[2:3]
	s_cbranch_execz .LBB4_3
.LBB4_105:                              ;   in Loop: Header=BB4_4 Depth=1
	v_cmp_lt_i32_e64 s[2:3], -1, v14
	v_cmp_gt_i32_e64 s[4:5], s12, v14
	s_and_b64 s[2:3], s[2:3], s[4:5]
	s_and_b64 s[4:5], vcc, s[2:3]
	s_and_saveexec_b64 s[2:3], s[4:5]
	s_cbranch_execz .LBB4_2
; %bb.106:                              ;   in Loop: Header=BB4_4 Depth=1
	v_ashrrev_i32_e32 v4, 31, v3
	v_lshlrev_b64 v[3:4], 2, v[3:4]
	v_add_u32_e32 v5, v14, v15
	v_mov_b32_e32 v6, s29
	v_add_co_u32_e32 v3, vcc, s28, v3
	v_addc_co_u32_e32 v4, vcc, v6, v4, vcc
	v_ashrrev_i32_e32 v6, 31, v5
	global_load_dword v12, v[3:4], off offset:96
	v_lshlrev_b64 v[3:4], 2, v[5:6]
	v_mov_b32_e32 v5, s27
	v_add_co_u32_e32 v3, vcc, s26, v3
	v_addc_co_u32_e32 v4, vcc, v5, v4, vcc
	global_load_dword v3, v[3:4], off
	s_waitcnt vmcnt(0)
	v_fmac_f32_e32 v11, v12, v3
	s_branch .LBB4_2
.LBB4_107:
	s_endpgm
	.section	.rodata,"a",@progbits
	.p2align	6, 0x0
	.amdhsa_kernel _ZN2at6native12_GLOBAL__N_131conv_depthwise2d_forward_kernelILi5EfiEEvN5torch10headeronly6detail27GenericPackedTensorAccessorINS5_14TensorAccessorIN3c108ArrayRefIlEEKT0_Lm3ENS4_16DefaultPtrTraitsEiEENS_6detail16IndexBoundsCheckILm4EiEESC_Lm4ESD_iEENS6_INS7_ISA_SB_Lm3ESD_iEESH_SB_Lm4ESD_iEESI_NS6_INS7_ISA_SC_Lm0ESD_iEENSG_ILm1EiEESC_Lm1ESD_iEEbT1_iiiiiiiiiiiiii
		.amdhsa_group_segment_fixed_size 0
		.amdhsa_private_segment_fixed_size 0
		.amdhsa_kernarg_size 456
		.amdhsa_user_sgpr_count 6
		.amdhsa_user_sgpr_private_segment_buffer 1
		.amdhsa_user_sgpr_dispatch_ptr 0
		.amdhsa_user_sgpr_queue_ptr 0
		.amdhsa_user_sgpr_kernarg_segment_ptr 1
		.amdhsa_user_sgpr_dispatch_id 0
		.amdhsa_user_sgpr_flat_scratch_init 0
		.amdhsa_user_sgpr_private_segment_size 0
		.amdhsa_uses_dynamic_stack 0
		.amdhsa_system_sgpr_private_segment_wavefront_offset 0
		.amdhsa_system_sgpr_workgroup_id_x 1
		.amdhsa_system_sgpr_workgroup_id_y 0
		.amdhsa_system_sgpr_workgroup_id_z 0
		.amdhsa_system_sgpr_workgroup_info 0
		.amdhsa_system_vgpr_workitem_id 0
		.amdhsa_next_free_vgpr 21
		.amdhsa_next_free_sgpr 51
		.amdhsa_reserve_vcc 1
		.amdhsa_reserve_flat_scratch 0
		.amdhsa_float_round_mode_32 0
		.amdhsa_float_round_mode_16_64 0
		.amdhsa_float_denorm_mode_32 3
		.amdhsa_float_denorm_mode_16_64 3
		.amdhsa_dx10_clamp 1
		.amdhsa_ieee_mode 1
		.amdhsa_fp16_overflow 0
		.amdhsa_exception_fp_ieee_invalid_op 0
		.amdhsa_exception_fp_denorm_src 0
		.amdhsa_exception_fp_ieee_div_zero 0
		.amdhsa_exception_fp_ieee_overflow 0
		.amdhsa_exception_fp_ieee_underflow 0
		.amdhsa_exception_fp_ieee_inexact 0
		.amdhsa_exception_int_div_zero 0
	.end_amdhsa_kernel
	.section	.text._ZN2at6native12_GLOBAL__N_131conv_depthwise2d_forward_kernelILi5EfiEEvN5torch10headeronly6detail27GenericPackedTensorAccessorINS5_14TensorAccessorIN3c108ArrayRefIlEEKT0_Lm3ENS4_16DefaultPtrTraitsEiEENS_6detail16IndexBoundsCheckILm4EiEESC_Lm4ESD_iEENS6_INS7_ISA_SB_Lm3ESD_iEESH_SB_Lm4ESD_iEESI_NS6_INS7_ISA_SC_Lm0ESD_iEENSG_ILm1EiEESC_Lm1ESD_iEEbT1_iiiiiiiiiiiiii,"axG",@progbits,_ZN2at6native12_GLOBAL__N_131conv_depthwise2d_forward_kernelILi5EfiEEvN5torch10headeronly6detail27GenericPackedTensorAccessorINS5_14TensorAccessorIN3c108ArrayRefIlEEKT0_Lm3ENS4_16DefaultPtrTraitsEiEENS_6detail16IndexBoundsCheckILm4EiEESC_Lm4ESD_iEENS6_INS7_ISA_SB_Lm3ESD_iEESH_SB_Lm4ESD_iEESI_NS6_INS7_ISA_SC_Lm0ESD_iEENSG_ILm1EiEESC_Lm1ESD_iEEbT1_iiiiiiiiiiiiii,comdat
.Lfunc_end4:
	.size	_ZN2at6native12_GLOBAL__N_131conv_depthwise2d_forward_kernelILi5EfiEEvN5torch10headeronly6detail27GenericPackedTensorAccessorINS5_14TensorAccessorIN3c108ArrayRefIlEEKT0_Lm3ENS4_16DefaultPtrTraitsEiEENS_6detail16IndexBoundsCheckILm4EiEESC_Lm4ESD_iEENS6_INS7_ISA_SB_Lm3ESD_iEESH_SB_Lm4ESD_iEESI_NS6_INS7_ISA_SC_Lm0ESD_iEENSG_ILm1EiEESC_Lm1ESD_iEEbT1_iiiiiiiiiiiiii, .Lfunc_end4-_ZN2at6native12_GLOBAL__N_131conv_depthwise2d_forward_kernelILi5EfiEEvN5torch10headeronly6detail27GenericPackedTensorAccessorINS5_14TensorAccessorIN3c108ArrayRefIlEEKT0_Lm3ENS4_16DefaultPtrTraitsEiEENS_6detail16IndexBoundsCheckILm4EiEESC_Lm4ESD_iEENS6_INS7_ISA_SB_Lm3ESD_iEESH_SB_Lm4ESD_iEESI_NS6_INS7_ISA_SC_Lm0ESD_iEENSG_ILm1EiEESC_Lm1ESD_iEEbT1_iiiiiiiiiiiiii
                                        ; -- End function
	.set _ZN2at6native12_GLOBAL__N_131conv_depthwise2d_forward_kernelILi5EfiEEvN5torch10headeronly6detail27GenericPackedTensorAccessorINS5_14TensorAccessorIN3c108ArrayRefIlEEKT0_Lm3ENS4_16DefaultPtrTraitsEiEENS_6detail16IndexBoundsCheckILm4EiEESC_Lm4ESD_iEENS6_INS7_ISA_SB_Lm3ESD_iEESH_SB_Lm4ESD_iEESI_NS6_INS7_ISA_SC_Lm0ESD_iEENSG_ILm1EiEESC_Lm1ESD_iEEbT1_iiiiiiiiiiiiii.num_vgpr, 21
	.set _ZN2at6native12_GLOBAL__N_131conv_depthwise2d_forward_kernelILi5EfiEEvN5torch10headeronly6detail27GenericPackedTensorAccessorINS5_14TensorAccessorIN3c108ArrayRefIlEEKT0_Lm3ENS4_16DefaultPtrTraitsEiEENS_6detail16IndexBoundsCheckILm4EiEESC_Lm4ESD_iEENS6_INS7_ISA_SB_Lm3ESD_iEESH_SB_Lm4ESD_iEESI_NS6_INS7_ISA_SC_Lm0ESD_iEENSG_ILm1EiEESC_Lm1ESD_iEEbT1_iiiiiiiiiiiiii.num_agpr, 0
	.set _ZN2at6native12_GLOBAL__N_131conv_depthwise2d_forward_kernelILi5EfiEEvN5torch10headeronly6detail27GenericPackedTensorAccessorINS5_14TensorAccessorIN3c108ArrayRefIlEEKT0_Lm3ENS4_16DefaultPtrTraitsEiEENS_6detail16IndexBoundsCheckILm4EiEESC_Lm4ESD_iEENS6_INS7_ISA_SB_Lm3ESD_iEESH_SB_Lm4ESD_iEESI_NS6_INS7_ISA_SC_Lm0ESD_iEENSG_ILm1EiEESC_Lm1ESD_iEEbT1_iiiiiiiiiiiiii.numbered_sgpr, 51
	.set _ZN2at6native12_GLOBAL__N_131conv_depthwise2d_forward_kernelILi5EfiEEvN5torch10headeronly6detail27GenericPackedTensorAccessorINS5_14TensorAccessorIN3c108ArrayRefIlEEKT0_Lm3ENS4_16DefaultPtrTraitsEiEENS_6detail16IndexBoundsCheckILm4EiEESC_Lm4ESD_iEENS6_INS7_ISA_SB_Lm3ESD_iEESH_SB_Lm4ESD_iEESI_NS6_INS7_ISA_SC_Lm0ESD_iEENSG_ILm1EiEESC_Lm1ESD_iEEbT1_iiiiiiiiiiiiii.num_named_barrier, 0
	.set _ZN2at6native12_GLOBAL__N_131conv_depthwise2d_forward_kernelILi5EfiEEvN5torch10headeronly6detail27GenericPackedTensorAccessorINS5_14TensorAccessorIN3c108ArrayRefIlEEKT0_Lm3ENS4_16DefaultPtrTraitsEiEENS_6detail16IndexBoundsCheckILm4EiEESC_Lm4ESD_iEENS6_INS7_ISA_SB_Lm3ESD_iEESH_SB_Lm4ESD_iEESI_NS6_INS7_ISA_SC_Lm0ESD_iEENSG_ILm1EiEESC_Lm1ESD_iEEbT1_iiiiiiiiiiiiii.private_seg_size, 0
	.set _ZN2at6native12_GLOBAL__N_131conv_depthwise2d_forward_kernelILi5EfiEEvN5torch10headeronly6detail27GenericPackedTensorAccessorINS5_14TensorAccessorIN3c108ArrayRefIlEEKT0_Lm3ENS4_16DefaultPtrTraitsEiEENS_6detail16IndexBoundsCheckILm4EiEESC_Lm4ESD_iEENS6_INS7_ISA_SB_Lm3ESD_iEESH_SB_Lm4ESD_iEESI_NS6_INS7_ISA_SC_Lm0ESD_iEENSG_ILm1EiEESC_Lm1ESD_iEEbT1_iiiiiiiiiiiiii.uses_vcc, 1
	.set _ZN2at6native12_GLOBAL__N_131conv_depthwise2d_forward_kernelILi5EfiEEvN5torch10headeronly6detail27GenericPackedTensorAccessorINS5_14TensorAccessorIN3c108ArrayRefIlEEKT0_Lm3ENS4_16DefaultPtrTraitsEiEENS_6detail16IndexBoundsCheckILm4EiEESC_Lm4ESD_iEENS6_INS7_ISA_SB_Lm3ESD_iEESH_SB_Lm4ESD_iEESI_NS6_INS7_ISA_SC_Lm0ESD_iEENSG_ILm1EiEESC_Lm1ESD_iEEbT1_iiiiiiiiiiiiii.uses_flat_scratch, 0
	.set _ZN2at6native12_GLOBAL__N_131conv_depthwise2d_forward_kernelILi5EfiEEvN5torch10headeronly6detail27GenericPackedTensorAccessorINS5_14TensorAccessorIN3c108ArrayRefIlEEKT0_Lm3ENS4_16DefaultPtrTraitsEiEENS_6detail16IndexBoundsCheckILm4EiEESC_Lm4ESD_iEENS6_INS7_ISA_SB_Lm3ESD_iEESH_SB_Lm4ESD_iEESI_NS6_INS7_ISA_SC_Lm0ESD_iEENSG_ILm1EiEESC_Lm1ESD_iEEbT1_iiiiiiiiiiiiii.has_dyn_sized_stack, 0
	.set _ZN2at6native12_GLOBAL__N_131conv_depthwise2d_forward_kernelILi5EfiEEvN5torch10headeronly6detail27GenericPackedTensorAccessorINS5_14TensorAccessorIN3c108ArrayRefIlEEKT0_Lm3ENS4_16DefaultPtrTraitsEiEENS_6detail16IndexBoundsCheckILm4EiEESC_Lm4ESD_iEENS6_INS7_ISA_SB_Lm3ESD_iEESH_SB_Lm4ESD_iEESI_NS6_INS7_ISA_SC_Lm0ESD_iEENSG_ILm1EiEESC_Lm1ESD_iEEbT1_iiiiiiiiiiiiii.has_recursion, 0
	.set _ZN2at6native12_GLOBAL__N_131conv_depthwise2d_forward_kernelILi5EfiEEvN5torch10headeronly6detail27GenericPackedTensorAccessorINS5_14TensorAccessorIN3c108ArrayRefIlEEKT0_Lm3ENS4_16DefaultPtrTraitsEiEENS_6detail16IndexBoundsCheckILm4EiEESC_Lm4ESD_iEENS6_INS7_ISA_SB_Lm3ESD_iEESH_SB_Lm4ESD_iEESI_NS6_INS7_ISA_SC_Lm0ESD_iEENSG_ILm1EiEESC_Lm1ESD_iEEbT1_iiiiiiiiiiiiii.has_indirect_call, 0
	.section	.AMDGPU.csdata,"",@progbits
; Kernel info:
; codeLenInByte = 4844
; TotalNumSgprs: 55
; NumVgprs: 21
; ScratchSize: 0
; MemoryBound: 0
; FloatMode: 240
; IeeeMode: 1
; LDSByteSize: 0 bytes/workgroup (compile time only)
; SGPRBlocks: 6
; VGPRBlocks: 5
; NumSGPRsForWavesPerEU: 55
; NumVGPRsForWavesPerEU: 21
; Occupancy: 10
; WaveLimiterHint : 0
; COMPUTE_PGM_RSRC2:SCRATCH_EN: 0
; COMPUTE_PGM_RSRC2:USER_SGPR: 6
; COMPUTE_PGM_RSRC2:TRAP_HANDLER: 0
; COMPUTE_PGM_RSRC2:TGID_X_EN: 1
; COMPUTE_PGM_RSRC2:TGID_Y_EN: 0
; COMPUTE_PGM_RSRC2:TGID_Z_EN: 0
; COMPUTE_PGM_RSRC2:TIDIG_COMP_CNT: 0
	.section	.text._ZN2at6native12_GLOBAL__N_131conv_depthwise2d_forward_kernelILi3EfiEEvN5torch10headeronly6detail27GenericPackedTensorAccessorINS5_14TensorAccessorIN3c108ArrayRefIlEEKT0_Lm3ENS4_16DefaultPtrTraitsEiEENS_6detail16IndexBoundsCheckILm4EiEESC_Lm4ESD_iEENS6_INS7_ISA_SB_Lm3ESD_iEESH_SB_Lm4ESD_iEESI_NS6_INS7_ISA_SC_Lm0ESD_iEENSG_ILm1EiEESC_Lm1ESD_iEEbT1_iiiiiiiiiiiiii,"axG",@progbits,_ZN2at6native12_GLOBAL__N_131conv_depthwise2d_forward_kernelILi3EfiEEvN5torch10headeronly6detail27GenericPackedTensorAccessorINS5_14TensorAccessorIN3c108ArrayRefIlEEKT0_Lm3ENS4_16DefaultPtrTraitsEiEENS_6detail16IndexBoundsCheckILm4EiEESC_Lm4ESD_iEENS6_INS7_ISA_SB_Lm3ESD_iEESH_SB_Lm4ESD_iEESI_NS6_INS7_ISA_SC_Lm0ESD_iEENSG_ILm1EiEESC_Lm1ESD_iEEbT1_iiiiiiiiiiiiii,comdat
	.globl	_ZN2at6native12_GLOBAL__N_131conv_depthwise2d_forward_kernelILi3EfiEEvN5torch10headeronly6detail27GenericPackedTensorAccessorINS5_14TensorAccessorIN3c108ArrayRefIlEEKT0_Lm3ENS4_16DefaultPtrTraitsEiEENS_6detail16IndexBoundsCheckILm4EiEESC_Lm4ESD_iEENS6_INS7_ISA_SB_Lm3ESD_iEESH_SB_Lm4ESD_iEESI_NS6_INS7_ISA_SC_Lm0ESD_iEENSG_ILm1EiEESC_Lm1ESD_iEEbT1_iiiiiiiiiiiiii ; -- Begin function _ZN2at6native12_GLOBAL__N_131conv_depthwise2d_forward_kernelILi3EfiEEvN5torch10headeronly6detail27GenericPackedTensorAccessorINS5_14TensorAccessorIN3c108ArrayRefIlEEKT0_Lm3ENS4_16DefaultPtrTraitsEiEENS_6detail16IndexBoundsCheckILm4EiEESC_Lm4ESD_iEENS6_INS7_ISA_SB_Lm3ESD_iEESH_SB_Lm4ESD_iEESI_NS6_INS7_ISA_SC_Lm0ESD_iEENSG_ILm1EiEESC_Lm1ESD_iEEbT1_iiiiiiiiiiiiii
	.p2align	8
	.type	_ZN2at6native12_GLOBAL__N_131conv_depthwise2d_forward_kernelILi3EfiEEvN5torch10headeronly6detail27GenericPackedTensorAccessorINS5_14TensorAccessorIN3c108ArrayRefIlEEKT0_Lm3ENS4_16DefaultPtrTraitsEiEENS_6detail16IndexBoundsCheckILm4EiEESC_Lm4ESD_iEENS6_INS7_ISA_SB_Lm3ESD_iEESH_SB_Lm4ESD_iEESI_NS6_INS7_ISA_SC_Lm0ESD_iEENSG_ILm1EiEESC_Lm1ESD_iEEbT1_iiiiiiiiiiiiii,@function
_ZN2at6native12_GLOBAL__N_131conv_depthwise2d_forward_kernelILi3EfiEEvN5torch10headeronly6detail27GenericPackedTensorAccessorINS5_14TensorAccessorIN3c108ArrayRefIlEEKT0_Lm3ENS4_16DefaultPtrTraitsEiEENS_6detail16IndexBoundsCheckILm4EiEESC_Lm4ESD_iEENS6_INS7_ISA_SB_Lm3ESD_iEESH_SB_Lm4ESD_iEESI_NS6_INS7_ISA_SC_Lm0ESD_iEENSG_ILm1EiEESC_Lm1ESD_iEEbT1_iiiiiiiiiiiiii: ; @_ZN2at6native12_GLOBAL__N_131conv_depthwise2d_forward_kernelILi3EfiEEvN5torch10headeronly6detail27GenericPackedTensorAccessorINS5_14TensorAccessorIN3c108ArrayRefIlEEKT0_Lm3ENS4_16DefaultPtrTraitsEiEENS_6detail16IndexBoundsCheckILm4EiEESC_Lm4ESD_iEENS6_INS7_ISA_SB_Lm3ESD_iEESH_SB_Lm4ESD_iEESI_NS6_INS7_ISA_SC_Lm0ESD_iEENSG_ILm1EiEESC_Lm1ESD_iEEbT1_iiiiiiiiiiiiii
; %bb.0:
	s_load_dword s0, s[4:5], 0xd4
	s_load_dwordx16 s[8:23], s[4:5], 0x88
	s_add_u32 s2, s4, 0xc8
	s_addc_u32 s3, s5, 0
	v_mov_b32_e32 v7, 0
	s_waitcnt lgkmcnt(0)
	s_and_b32 s7, s0, 0xffff
	s_mul_hi_u32 s33, s7, s6
	s_mul_i32 s40, s7, s6
	v_mov_b32_e32 v2, s33
	v_add_co_u32_e32 v1, vcc, s40, v0
	v_addc_co_u32_e32 v2, vcc, 0, v2, vcc
	s_ashr_i32 s25, s9, 31
	s_mov_b32 s24, s9
	v_cmp_gt_i64_e32 vcc, s[24:25], v[1:2]
	s_and_saveexec_b64 s[0:1], vcc
	s_cbranch_execz .LBB5_43
; %bb.1:
	s_bitcmp1_b32 s8, 0
	s_cselect_b64 s[8:9], -1, 0
	s_cmp_lg_u32 s11, 1
	s_cselect_b64 s[0:1], -1, 0
	s_abs_i32 s41, s14
	v_cvt_f32_u32_e32 v3, s41
	s_abs_i32 s43, s15
	v_cvt_f32_u32_e32 v4, s43
	s_load_dwordx2 s[26:27], s[4:5], 0x0
	s_load_dwordx2 s[34:35], s[4:5], 0x28
	s_load_dwordx2 s[28:29], s[4:5], 0x50
	s_load_dwordx2 s[30:31], s[4:5], 0x78
	s_load_dword s6, s[2:3], 0x0
	v_rcp_iflag_f32_e32 v3, v3
	s_sub_i32 s2, 0, s41
	v_rcp_iflag_f32_e32 v4, v4
	s_abs_i32 s44, s10
	v_mul_f32_e32 v3, 0x4f7ffffe, v3
	v_cvt_u32_f32_e32 v3, v3
	v_cvt_f32_u32_e32 v6, s44
	v_mul_f32_e32 v4, 0x4f7ffffe, v4
	v_cvt_u32_f32_e32 v4, v4
	v_mul_lo_u32 v5, s2, v3
	v_rcp_iflag_f32_e32 v6, v6
	s_sub_i32 s2, 0, s43
	s_abs_i32 s46, s11
	v_mul_hi_u32 v5, v3, v5
	v_mul_lo_u32 v9, s2, v4
	s_sub_i32 s2, 0, s44
	s_ashr_i32 s48, s10, 31
	v_add_u32_e32 v8, v3, v5
	v_mul_f32_e32 v5, 0x4f7ffffe, v6
	v_cvt_f32_u32_e32 v6, s46
	v_mul_hi_u32 v3, v4, v9
	v_cvt_u32_f32_e32 v5, v5
	s_ashr_i32 s11, s11, 31
	v_rcp_iflag_f32_e32 v6, v6
	v_add_u32_e32 v9, v4, v3
	v_mul_lo_u32 v10, s2, v5
	s_sub_i32 s2, 0, s46
	v_mul_f32_e32 v4, 0x4f7ffffe, v6
	v_cvt_u32_f32_e32 v4, v4
	s_mul_i32 s42, s17, s16
	s_waitcnt lgkmcnt(0)
	s_mul_i32 s16, s6, s7
	s_ashr_i32 s45, s14, 31
	v_readfirstlane_b32 s3, v4
	s_mul_i32 s2, s2, s3
	s_mul_hi_u32 s2, s3, s2
	s_add_i32 s49, s3, s2
	s_mul_hi_u32 s3, s44, s49
	s_mul_i32 s4, s3, s46
	s_sub_i32 s4, s44, s4
	s_ashr_i32 s47, s15, 31
	s_xor_b32 s2, s48, s11
	s_add_i32 s5, s3, 1
	s_sub_i32 s6, s4, s46
	v_mul_hi_u32 v3, v5, v10
	s_cmp_ge_u32 s4, s46
	s_cselect_b32 s3, s5, s3
	s_cselect_b32 s4, s6, s4
	s_add_i32 s5, s3, 1
	v_lshlrev_b64 v[1:2], 2, v[1:2]
	s_cmp_ge_u32 s4, s46
	v_add_u32_e32 v10, v5, v3
	s_cselect_b32 s3, s5, s3
	v_mov_b32_e32 v3, s35
	v_add_co_u32_e32 v1, vcc, s34, v1
	s_mov_b32 s17, 0
	s_xor_b32 s3, s3, s2
	v_addc_co_u32_e32 v2, vcc, v3, v2, vcc
	v_cndmask_b32_e64 v3, 0, 1, s[0:1]
	s_sub_i32 s50, s3, s2
	s_lshl_b64 s[34:35], s[16:17], 2
	s_sub_i32 s14, 0, s14
	s_mov_b64 s[36:37], 0
	v_cmp_ne_u32_e64 s[0:1], 1, v3
	s_branch .LBB5_4
.LBB5_2:                                ;   in Loop: Header=BB5_4 Depth=1
	s_or_b64 exec, exec, s[2:3]
.LBB5_3:                                ;   in Loop: Header=BB5_4 Depth=1
	s_or_b64 exec, exec, s[6:7]
	v_add_co_u32_e32 v0, vcc, s16, v0
	v_addc_co_u32_e32 v7, vcc, 0, v7, vcc
	v_mov_b32_e32 v4, s33
	v_add_co_u32_e32 v3, vcc, s40, v0
	v_addc_co_u32_e32 v4, vcc, v4, v7, vcc
	v_cmp_le_i64_e32 vcc, s[24:25], v[3:4]
	s_waitcnt vmcnt(0)
	global_store_dword v[1:2], v11, off
	v_mov_b32_e32 v3, s35
	s_or_b64 s[36:37], vcc, s[36:37]
	v_add_co_u32_e32 v1, vcc, s34, v1
	v_addc_co_u32_e32 v2, vcc, v2, v3, vcc
	s_andn2_b64 exec, exec, s[36:37]
	s_cbranch_execz .LBB5_43
.LBB5_4:                                ; =>This Inner Loop Header: Depth=1
	v_add_co_u32_e32 v3, vcc, s40, v0
	v_sub_u32_e32 v4, 0, v3
	v_max_i32_e32 v4, v3, v4
	v_mul_hi_u32 v5, v4, v8
	v_ashrrev_i32_e32 v11, 31, v3
	v_xor_b32_e32 v11, s45, v11
	s_mov_b32 s2, s10
	v_mul_lo_u32 v6, v5, s41
	v_add_u32_e32 v12, 1, v5
	v_sub_u32_e32 v4, v4, v6
	v_cmp_le_u32_e32 vcc, s41, v4
	v_subrev_u32_e32 v6, s41, v4
	v_cndmask_b32_e32 v5, v5, v12, vcc
	v_cndmask_b32_e32 v4, v4, v6, vcc
	v_add_u32_e32 v6, 1, v5
	v_cmp_le_u32_e32 vcc, s41, v4
	v_cndmask_b32_e32 v4, v5, v6, vcc
	v_xor_b32_e32 v4, v4, v11
	v_sub_u32_e32 v12, v4, v11
	v_sub_u32_e32 v4, 0, v12
	v_max_i32_e32 v4, v12, v4
	v_mul_hi_u32 v5, v4, v9
	v_ashrrev_i32_e32 v11, 31, v12
	v_xor_b32_e32 v11, s47, v11
	v_mul_lo_u32 v6, v5, s43
	v_add_u32_e32 v13, 1, v5
	v_sub_u32_e32 v4, v4, v6
	v_cmp_le_u32_e32 vcc, s43, v4
	v_subrev_u32_e32 v6, s43, v4
	v_cndmask_b32_e32 v5, v5, v13, vcc
	v_cndmask_b32_e32 v4, v4, v6, vcc
	v_add_u32_e32 v6, 1, v5
	v_cmp_le_u32_e32 vcc, s43, v4
	v_cndmask_b32_e32 v4, v5, v6, vcc
	v_xor_b32_e32 v4, v4, v11
	v_sub_u32_e32 v13, v4, v11
	v_sub_u32_e32 v4, 0, v13
	v_max_i32_e32 v4, v13, v4
	v_mul_hi_u32 v5, v4, v10
	v_ashrrev_i32_e32 v11, 31, v13
	v_xor_b32_e32 v11, s48, v11
	v_mul_lo_u32 v6, v5, s44
	v_add_u32_e32 v14, 1, v5
	v_sub_u32_e32 v4, v4, v6
	v_cmp_le_u32_e32 vcc, s44, v4
	v_subrev_u32_e32 v6, s44, v4
	v_cndmask_b32_e32 v5, v5, v14, vcc
	v_cndmask_b32_e32 v4, v4, v6, vcc
	v_add_u32_e32 v6, 1, v5
	v_cmp_le_u32_e32 vcc, s44, v4
	v_cndmask_b32_e32 v4, v5, v6, vcc
	v_xor_b32_e32 v4, v4, v11
	v_sub_u32_e32 v14, v4, v11
	v_mul_lo_u32 v4, v14, s10
	s_and_b64 vcc, exec, s[0:1]
	v_sub_u32_e32 v4, v13, v4
	v_ashrrev_i32_e32 v5, 31, v4
	v_mov_b32_e32 v6, v4
	s_cbranch_vccnz .LBB5_6
; %bb.5:                                ;   in Loop: Header=BB5_4 Depth=1
	v_sub_u32_e32 v6, 0, v4
	v_max_i32_e32 v6, v4, v6
	v_mul_hi_u32 v11, v6, s49
	v_xor_b32_e32 v16, s11, v5
	s_mov_b32 s2, s50
	v_mul_lo_u32 v15, v11, s46
	v_add_u32_e32 v17, 1, v11
	v_sub_u32_e32 v6, v6, v15
	v_cmp_le_u32_e32 vcc, s46, v6
	v_subrev_u32_e32 v15, s46, v6
	v_cndmask_b32_e32 v11, v11, v17, vcc
	v_cndmask_b32_e32 v6, v6, v15, vcc
	v_add_u32_e32 v15, 1, v11
	v_cmp_le_u32_e32 vcc, s46, v6
	v_cndmask_b32_e32 v6, v11, v15, vcc
	v_xor_b32_e32 v6, v6, v16
	v_sub_u32_e32 v6, v6, v16
.LBB5_6:                                ;   in Loop: Header=BB5_4 Depth=1
	s_andn2_b64 vcc, exec, s[8:9]
	v_mov_b32_e32 v11, 0
	s_cbranch_vccnz .LBB5_8
; %bb.7:                                ;   in Loop: Header=BB5_4 Depth=1
	v_lshlrev_b64 v[15:16], 2, v[4:5]
	v_mov_b32_e32 v5, s31
	v_add_co_u32_e32 v15, vcc, s30, v15
	v_addc_co_u32_e32 v16, vcc, v5, v16, vcc
	global_load_dword v11, v[15:16], off
.LBB5_8:                                ;   in Loop: Header=BB5_4 Depth=1
	v_mul_lo_u32 v13, v13, s15
	v_mad_u64_u32 v[5:6], s[2:3], s2, v14, v[6:7]
	v_mad_u64_u32 v[14:15], s[2:3], s14, v12, v[3:4]
	v_sub_u32_e32 v3, v12, v13
	v_mul_lo_u32 v6, v3, s19
	v_mul_lo_u32 v13, v5, s13
	;; [unrolled: 1-line block ×4, first 2 shown]
	v_subrev_u32_e32 v14, s21, v6
	v_add_u32_e32 v5, v14, v13
	v_mul_lo_u32 v15, v5, s12
	v_subrev_u32_e32 v5, s20, v4
	v_cmp_lt_i32_e64 s[2:3], -1, v14
	v_cmp_gt_i32_e32 vcc, s13, v14
	s_and_saveexec_b64 s[38:39], s[2:3]
	s_cbranch_execnz .LBB5_11
; %bb.9:                                ;   in Loop: Header=BB5_4 Depth=1
	s_or_b64 exec, exec, s[38:39]
	v_add_u32_e32 v6, s22, v5
	s_and_saveexec_b64 s[38:39], s[2:3]
	s_cbranch_execnz .LBB5_14
.LBB5_10:                               ;   in Loop: Header=BB5_4 Depth=1
	s_or_b64 exec, exec, s[38:39]
	v_add_u32_e32 v12, s22, v6
	s_and_saveexec_b64 s[6:7], s[2:3]
	s_cbranch_execnz .LBB5_17
	s_branch .LBB5_20
.LBB5_11:                               ;   in Loop: Header=BB5_4 Depth=1
	v_cmp_lt_i32_e64 s[4:5], -1, v5
	v_cmp_gt_i32_e64 s[6:7], s12, v5
	s_and_b64 s[4:5], s[4:5], s[6:7]
	s_and_b64 s[4:5], vcc, s[4:5]
	s_and_saveexec_b64 s[6:7], s[4:5]
	s_cbranch_execz .LBB5_13
; %bb.12:                               ;   in Loop: Header=BB5_4 Depth=1
	v_ashrrev_i32_e32 v4, 31, v3
	v_lshlrev_b64 v[17:18], 2, v[3:4]
	v_mov_b32_e32 v4, s29
	v_add_co_u32_e64 v17, s[4:5], s28, v17
	v_add_u32_e32 v16, v5, v15
	v_addc_co_u32_e64 v18, s[4:5], v4, v18, s[4:5]
	global_load_dword v4, v[17:18], off
	v_ashrrev_i32_e32 v17, 31, v16
	v_lshlrev_b64 v[16:17], 2, v[16:17]
	v_mov_b32_e32 v6, s27
	v_add_co_u32_e64 v16, s[4:5], s26, v16
	v_addc_co_u32_e64 v17, s[4:5], v6, v17, s[4:5]
	global_load_dword v6, v[16:17], off
	s_waitcnt vmcnt(0)
	v_fmac_f32_e32 v11, v4, v6
.LBB5_13:                               ;   in Loop: Header=BB5_4 Depth=1
	s_or_b64 exec, exec, s[6:7]
	s_or_b64 exec, exec, s[38:39]
	v_add_u32_e32 v6, s22, v5
	s_and_saveexec_b64 s[38:39], s[2:3]
	s_cbranch_execz .LBB5_10
.LBB5_14:                               ;   in Loop: Header=BB5_4 Depth=1
	v_cmp_lt_i32_e64 s[4:5], -1, v6
	v_cmp_gt_i32_e64 s[6:7], s12, v6
	s_and_b64 s[4:5], s[4:5], s[6:7]
	s_and_b64 s[4:5], vcc, s[4:5]
	s_and_saveexec_b64 s[6:7], s[4:5]
	s_cbranch_execz .LBB5_16
; %bb.15:                               ;   in Loop: Header=BB5_4 Depth=1
	v_ashrrev_i32_e32 v4, 31, v3
	v_lshlrev_b64 v[17:18], 2, v[3:4]
	v_mov_b32_e32 v4, s29
	v_add_co_u32_e64 v17, s[4:5], s28, v17
	v_add_u32_e32 v16, v6, v15
	v_addc_co_u32_e64 v18, s[4:5], v4, v18, s[4:5]
	global_load_dword v4, v[17:18], off offset:4
	v_ashrrev_i32_e32 v17, 31, v16
	v_lshlrev_b64 v[16:17], 2, v[16:17]
	v_mov_b32_e32 v12, s27
	v_add_co_u32_e64 v16, s[4:5], s26, v16
	v_addc_co_u32_e64 v17, s[4:5], v12, v17, s[4:5]
	global_load_dword v12, v[16:17], off
	s_waitcnt vmcnt(0)
	v_fmac_f32_e32 v11, v4, v12
.LBB5_16:                               ;   in Loop: Header=BB5_4 Depth=1
	s_or_b64 exec, exec, s[6:7]
	s_or_b64 exec, exec, s[38:39]
	v_add_u32_e32 v12, s22, v6
	s_and_saveexec_b64 s[6:7], s[2:3]
	s_cbranch_execz .LBB5_20
.LBB5_17:                               ;   in Loop: Header=BB5_4 Depth=1
	v_cmp_lt_i32_e64 s[2:3], -1, v12
	v_cmp_gt_i32_e64 s[4:5], s12, v12
	s_and_b64 s[2:3], s[2:3], s[4:5]
	s_and_b64 s[4:5], vcc, s[2:3]
	s_and_saveexec_b64 s[2:3], s[4:5]
	s_cbranch_execz .LBB5_19
; %bb.18:                               ;   in Loop: Header=BB5_4 Depth=1
	v_ashrrev_i32_e32 v4, 31, v3
	v_lshlrev_b64 v[16:17], 2, v[3:4]
	v_mov_b32_e32 v4, s29
	v_add_co_u32_e32 v16, vcc, s28, v16
	v_add_u32_e32 v15, v12, v15
	v_addc_co_u32_e32 v17, vcc, v4, v17, vcc
	global_load_dword v4, v[16:17], off offset:8
	v_ashrrev_i32_e32 v16, 31, v15
	v_lshlrev_b64 v[15:16], 2, v[15:16]
	v_mov_b32_e32 v17, s27
	v_add_co_u32_e32 v15, vcc, s26, v15
	v_addc_co_u32_e32 v16, vcc, v17, v16, vcc
	global_load_dword v15, v[15:16], off
	s_waitcnt vmcnt(0)
	v_fmac_f32_e32 v11, v4, v15
.LBB5_19:                               ;   in Loop: Header=BB5_4 Depth=1
	s_or_b64 exec, exec, s[2:3]
.LBB5_20:                               ;   in Loop: Header=BB5_4 Depth=1
	s_or_b64 exec, exec, s[6:7]
	v_add_u32_e32 v14, s23, v14
	v_add_u32_e32 v4, v14, v13
	v_mul_lo_u32 v15, v4, s12
	v_cmp_lt_i32_e64 s[2:3], -1, v14
	v_cmp_gt_i32_e32 vcc, s13, v14
	s_and_saveexec_b64 s[38:39], s[2:3]
	s_cbranch_execnz .LBB5_23
; %bb.21:                               ;   in Loop: Header=BB5_4 Depth=1
	s_or_b64 exec, exec, s[38:39]
	s_and_saveexec_b64 s[38:39], s[2:3]
	s_cbranch_execnz .LBB5_26
.LBB5_22:                               ;   in Loop: Header=BB5_4 Depth=1
	s_or_b64 exec, exec, s[38:39]
	s_and_saveexec_b64 s[6:7], s[2:3]
	s_cbranch_execnz .LBB5_29
	s_branch .LBB5_32
.LBB5_23:                               ;   in Loop: Header=BB5_4 Depth=1
	v_cmp_lt_i32_e64 s[4:5], -1, v5
	v_cmp_gt_i32_e64 s[6:7], s12, v5
	s_and_b64 s[4:5], s[4:5], s[6:7]
	s_and_b64 s[4:5], vcc, s[4:5]
	s_and_saveexec_b64 s[6:7], s[4:5]
	s_cbranch_execz .LBB5_25
; %bb.24:                               ;   in Loop: Header=BB5_4 Depth=1
	v_ashrrev_i32_e32 v4, 31, v3
	v_lshlrev_b64 v[17:18], 2, v[3:4]
	v_mov_b32_e32 v4, s29
	v_add_co_u32_e64 v17, s[4:5], s28, v17
	v_add_u32_e32 v16, v5, v15
	v_addc_co_u32_e64 v18, s[4:5], v4, v18, s[4:5]
	global_load_dword v4, v[17:18], off offset:12
	v_ashrrev_i32_e32 v17, 31, v16
	v_lshlrev_b64 v[16:17], 2, v[16:17]
	v_mov_b32_e32 v18, s27
	v_add_co_u32_e64 v16, s[4:5], s26, v16
	v_addc_co_u32_e64 v17, s[4:5], v18, v17, s[4:5]
	global_load_dword v16, v[16:17], off
	s_waitcnt vmcnt(0)
	v_fmac_f32_e32 v11, v4, v16
.LBB5_25:                               ;   in Loop: Header=BB5_4 Depth=1
	s_or_b64 exec, exec, s[6:7]
	s_or_b64 exec, exec, s[38:39]
	s_and_saveexec_b64 s[38:39], s[2:3]
	s_cbranch_execz .LBB5_22
.LBB5_26:                               ;   in Loop: Header=BB5_4 Depth=1
	v_cmp_lt_i32_e64 s[4:5], -1, v6
	v_cmp_gt_i32_e64 s[6:7], s12, v6
	s_and_b64 s[4:5], s[4:5], s[6:7]
	s_and_b64 s[4:5], vcc, s[4:5]
	s_and_saveexec_b64 s[6:7], s[4:5]
	s_cbranch_execz .LBB5_28
; %bb.27:                               ;   in Loop: Header=BB5_4 Depth=1
	v_ashrrev_i32_e32 v4, 31, v3
	v_lshlrev_b64 v[17:18], 2, v[3:4]
	v_mov_b32_e32 v4, s29
	v_add_co_u32_e64 v17, s[4:5], s28, v17
	v_add_u32_e32 v16, v6, v15
	v_addc_co_u32_e64 v18, s[4:5], v4, v18, s[4:5]
	global_load_dword v4, v[17:18], off offset:16
	v_ashrrev_i32_e32 v17, 31, v16
	v_lshlrev_b64 v[16:17], 2, v[16:17]
	v_mov_b32_e32 v18, s27
	v_add_co_u32_e64 v16, s[4:5], s26, v16
	v_addc_co_u32_e64 v17, s[4:5], v18, v17, s[4:5]
	global_load_dword v16, v[16:17], off
	s_waitcnt vmcnt(0)
	v_fmac_f32_e32 v11, v4, v16
.LBB5_28:                               ;   in Loop: Header=BB5_4 Depth=1
	s_or_b64 exec, exec, s[6:7]
	s_or_b64 exec, exec, s[38:39]
	s_and_saveexec_b64 s[6:7], s[2:3]
	s_cbranch_execz .LBB5_32
.LBB5_29:                               ;   in Loop: Header=BB5_4 Depth=1
	v_cmp_lt_i32_e64 s[2:3], -1, v12
	v_cmp_gt_i32_e64 s[4:5], s12, v12
	s_and_b64 s[2:3], s[2:3], s[4:5]
	s_and_b64 s[4:5], vcc, s[2:3]
	s_and_saveexec_b64 s[2:3], s[4:5]
	s_cbranch_execz .LBB5_31
; %bb.30:                               ;   in Loop: Header=BB5_4 Depth=1
	v_ashrrev_i32_e32 v4, 31, v3
	v_lshlrev_b64 v[16:17], 2, v[3:4]
	v_mov_b32_e32 v4, s29
	v_add_co_u32_e32 v16, vcc, s28, v16
	v_add_u32_e32 v15, v12, v15
	v_addc_co_u32_e32 v17, vcc, v4, v17, vcc
	global_load_dword v4, v[16:17], off offset:20
	v_ashrrev_i32_e32 v16, 31, v15
	v_lshlrev_b64 v[15:16], 2, v[15:16]
	v_mov_b32_e32 v17, s27
	v_add_co_u32_e32 v15, vcc, s26, v15
	v_addc_co_u32_e32 v16, vcc, v17, v16, vcc
	global_load_dword v15, v[15:16], off
	s_waitcnt vmcnt(0)
	v_fmac_f32_e32 v11, v4, v15
.LBB5_31:                               ;   in Loop: Header=BB5_4 Depth=1
	s_or_b64 exec, exec, s[2:3]
.LBB5_32:                               ;   in Loop: Header=BB5_4 Depth=1
	s_or_b64 exec, exec, s[6:7]
	v_add_u32_e32 v4, s23, v14
	v_add_u32_e32 v13, v4, v13
	v_mul_lo_u32 v13, v13, s12
	v_cmp_lt_i32_e64 s[2:3], -1, v4
	v_cmp_gt_i32_e32 vcc, s13, v4
	s_and_saveexec_b64 s[38:39], s[2:3]
	s_cbranch_execnz .LBB5_35
; %bb.33:                               ;   in Loop: Header=BB5_4 Depth=1
	s_or_b64 exec, exec, s[38:39]
	s_and_saveexec_b64 s[38:39], s[2:3]
	s_cbranch_execnz .LBB5_38
.LBB5_34:                               ;   in Loop: Header=BB5_4 Depth=1
	s_or_b64 exec, exec, s[38:39]
	s_and_saveexec_b64 s[6:7], s[2:3]
	s_cbranch_execz .LBB5_3
	s_branch .LBB5_41
.LBB5_35:                               ;   in Loop: Header=BB5_4 Depth=1
	v_cmp_lt_i32_e64 s[4:5], -1, v5
	v_cmp_gt_i32_e64 s[6:7], s12, v5
	s_and_b64 s[4:5], s[4:5], s[6:7]
	s_and_b64 s[4:5], vcc, s[4:5]
	s_and_saveexec_b64 s[6:7], s[4:5]
	s_cbranch_execz .LBB5_37
; %bb.36:                               ;   in Loop: Header=BB5_4 Depth=1
	v_ashrrev_i32_e32 v4, 31, v3
	v_add_u32_e32 v14, v5, v13
	v_lshlrev_b64 v[4:5], 2, v[3:4]
	v_mov_b32_e32 v15, s29
	v_add_co_u32_e64 v4, s[4:5], s28, v4
	v_addc_co_u32_e64 v5, s[4:5], v15, v5, s[4:5]
	v_ashrrev_i32_e32 v15, 31, v14
	global_load_dword v16, v[4:5], off offset:24
	v_lshlrev_b64 v[4:5], 2, v[14:15]
	v_mov_b32_e32 v14, s27
	v_add_co_u32_e64 v4, s[4:5], s26, v4
	v_addc_co_u32_e64 v5, s[4:5], v14, v5, s[4:5]
	global_load_dword v4, v[4:5], off
	s_waitcnt vmcnt(0)
	v_fmac_f32_e32 v11, v16, v4
.LBB5_37:                               ;   in Loop: Header=BB5_4 Depth=1
	s_or_b64 exec, exec, s[6:7]
	s_or_b64 exec, exec, s[38:39]
	s_and_saveexec_b64 s[38:39], s[2:3]
	s_cbranch_execz .LBB5_34
.LBB5_38:                               ;   in Loop: Header=BB5_4 Depth=1
	v_cmp_lt_i32_e64 s[4:5], -1, v6
	v_cmp_gt_i32_e64 s[6:7], s12, v6
	s_and_b64 s[4:5], s[4:5], s[6:7]
	s_and_b64 s[4:5], vcc, s[4:5]
	s_and_saveexec_b64 s[6:7], s[4:5]
	s_cbranch_execz .LBB5_40
; %bb.39:                               ;   in Loop: Header=BB5_4 Depth=1
	v_ashrrev_i32_e32 v4, 31, v3
	v_lshlrev_b64 v[14:15], 2, v[3:4]
	v_add_u32_e32 v5, v6, v13
	v_mov_b32_e32 v4, s29
	v_add_co_u32_e64 v14, s[4:5], s28, v14
	v_ashrrev_i32_e32 v6, 31, v5
	v_addc_co_u32_e64 v15, s[4:5], v4, v15, s[4:5]
	v_lshlrev_b64 v[4:5], 2, v[5:6]
	v_mov_b32_e32 v6, s27
	v_add_co_u32_e64 v4, s[4:5], s26, v4
	v_addc_co_u32_e64 v5, s[4:5], v6, v5, s[4:5]
	global_load_dword v14, v[14:15], off offset:28
	s_nop 0
	global_load_dword v4, v[4:5], off
	s_waitcnt vmcnt(0)
	v_fmac_f32_e32 v11, v14, v4
.LBB5_40:                               ;   in Loop: Header=BB5_4 Depth=1
	s_or_b64 exec, exec, s[6:7]
	s_or_b64 exec, exec, s[38:39]
	s_and_saveexec_b64 s[6:7], s[2:3]
	s_cbranch_execz .LBB5_3
.LBB5_41:                               ;   in Loop: Header=BB5_4 Depth=1
	v_cmp_lt_i32_e64 s[2:3], -1, v12
	v_cmp_gt_i32_e64 s[4:5], s12, v12
	s_and_b64 s[2:3], s[2:3], s[4:5]
	s_and_b64 s[4:5], vcc, s[2:3]
	s_and_saveexec_b64 s[2:3], s[4:5]
	s_cbranch_execz .LBB5_2
; %bb.42:                               ;   in Loop: Header=BB5_4 Depth=1
	v_ashrrev_i32_e32 v4, 31, v3
	v_lshlrev_b64 v[3:4], 2, v[3:4]
	v_add_u32_e32 v5, v12, v13
	v_mov_b32_e32 v6, s29
	v_add_co_u32_e32 v3, vcc, s28, v3
	v_addc_co_u32_e32 v4, vcc, v6, v4, vcc
	v_ashrrev_i32_e32 v6, 31, v5
	global_load_dword v12, v[3:4], off offset:32
	v_lshlrev_b64 v[3:4], 2, v[5:6]
	v_mov_b32_e32 v5, s27
	v_add_co_u32_e32 v3, vcc, s26, v3
	v_addc_co_u32_e32 v4, vcc, v5, v4, vcc
	global_load_dword v3, v[3:4], off
	s_waitcnt vmcnt(0)
	v_fmac_f32_e32 v11, v12, v3
	s_branch .LBB5_2
.LBB5_43:
	s_endpgm
	.section	.rodata,"a",@progbits
	.p2align	6, 0x0
	.amdhsa_kernel _ZN2at6native12_GLOBAL__N_131conv_depthwise2d_forward_kernelILi3EfiEEvN5torch10headeronly6detail27GenericPackedTensorAccessorINS5_14TensorAccessorIN3c108ArrayRefIlEEKT0_Lm3ENS4_16DefaultPtrTraitsEiEENS_6detail16IndexBoundsCheckILm4EiEESC_Lm4ESD_iEENS6_INS7_ISA_SB_Lm3ESD_iEESH_SB_Lm4ESD_iEESI_NS6_INS7_ISA_SC_Lm0ESD_iEENSG_ILm1EiEESC_Lm1ESD_iEEbT1_iiiiiiiiiiiiii
		.amdhsa_group_segment_fixed_size 0
		.amdhsa_private_segment_fixed_size 0
		.amdhsa_kernarg_size 456
		.amdhsa_user_sgpr_count 6
		.amdhsa_user_sgpr_private_segment_buffer 1
		.amdhsa_user_sgpr_dispatch_ptr 0
		.amdhsa_user_sgpr_queue_ptr 0
		.amdhsa_user_sgpr_kernarg_segment_ptr 1
		.amdhsa_user_sgpr_dispatch_id 0
		.amdhsa_user_sgpr_flat_scratch_init 0
		.amdhsa_user_sgpr_private_segment_size 0
		.amdhsa_uses_dynamic_stack 0
		.amdhsa_system_sgpr_private_segment_wavefront_offset 0
		.amdhsa_system_sgpr_workgroup_id_x 1
		.amdhsa_system_sgpr_workgroup_id_y 0
		.amdhsa_system_sgpr_workgroup_id_z 0
		.amdhsa_system_sgpr_workgroup_info 0
		.amdhsa_system_vgpr_workitem_id 0
		.amdhsa_next_free_vgpr 19
		.amdhsa_next_free_sgpr 51
		.amdhsa_reserve_vcc 1
		.amdhsa_reserve_flat_scratch 0
		.amdhsa_float_round_mode_32 0
		.amdhsa_float_round_mode_16_64 0
		.amdhsa_float_denorm_mode_32 3
		.amdhsa_float_denorm_mode_16_64 3
		.amdhsa_dx10_clamp 1
		.amdhsa_ieee_mode 1
		.amdhsa_fp16_overflow 0
		.amdhsa_exception_fp_ieee_invalid_op 0
		.amdhsa_exception_fp_denorm_src 0
		.amdhsa_exception_fp_ieee_div_zero 0
		.amdhsa_exception_fp_ieee_overflow 0
		.amdhsa_exception_fp_ieee_underflow 0
		.amdhsa_exception_fp_ieee_inexact 0
		.amdhsa_exception_int_div_zero 0
	.end_amdhsa_kernel
	.section	.text._ZN2at6native12_GLOBAL__N_131conv_depthwise2d_forward_kernelILi3EfiEEvN5torch10headeronly6detail27GenericPackedTensorAccessorINS5_14TensorAccessorIN3c108ArrayRefIlEEKT0_Lm3ENS4_16DefaultPtrTraitsEiEENS_6detail16IndexBoundsCheckILm4EiEESC_Lm4ESD_iEENS6_INS7_ISA_SB_Lm3ESD_iEESH_SB_Lm4ESD_iEESI_NS6_INS7_ISA_SC_Lm0ESD_iEENSG_ILm1EiEESC_Lm1ESD_iEEbT1_iiiiiiiiiiiiii,"axG",@progbits,_ZN2at6native12_GLOBAL__N_131conv_depthwise2d_forward_kernelILi3EfiEEvN5torch10headeronly6detail27GenericPackedTensorAccessorINS5_14TensorAccessorIN3c108ArrayRefIlEEKT0_Lm3ENS4_16DefaultPtrTraitsEiEENS_6detail16IndexBoundsCheckILm4EiEESC_Lm4ESD_iEENS6_INS7_ISA_SB_Lm3ESD_iEESH_SB_Lm4ESD_iEESI_NS6_INS7_ISA_SC_Lm0ESD_iEENSG_ILm1EiEESC_Lm1ESD_iEEbT1_iiiiiiiiiiiiii,comdat
.Lfunc_end5:
	.size	_ZN2at6native12_GLOBAL__N_131conv_depthwise2d_forward_kernelILi3EfiEEvN5torch10headeronly6detail27GenericPackedTensorAccessorINS5_14TensorAccessorIN3c108ArrayRefIlEEKT0_Lm3ENS4_16DefaultPtrTraitsEiEENS_6detail16IndexBoundsCheckILm4EiEESC_Lm4ESD_iEENS6_INS7_ISA_SB_Lm3ESD_iEESH_SB_Lm4ESD_iEESI_NS6_INS7_ISA_SC_Lm0ESD_iEENSG_ILm1EiEESC_Lm1ESD_iEEbT1_iiiiiiiiiiiiii, .Lfunc_end5-_ZN2at6native12_GLOBAL__N_131conv_depthwise2d_forward_kernelILi3EfiEEvN5torch10headeronly6detail27GenericPackedTensorAccessorINS5_14TensorAccessorIN3c108ArrayRefIlEEKT0_Lm3ENS4_16DefaultPtrTraitsEiEENS_6detail16IndexBoundsCheckILm4EiEESC_Lm4ESD_iEENS6_INS7_ISA_SB_Lm3ESD_iEESH_SB_Lm4ESD_iEESI_NS6_INS7_ISA_SC_Lm0ESD_iEENSG_ILm1EiEESC_Lm1ESD_iEEbT1_iiiiiiiiiiiiii
                                        ; -- End function
	.set _ZN2at6native12_GLOBAL__N_131conv_depthwise2d_forward_kernelILi3EfiEEvN5torch10headeronly6detail27GenericPackedTensorAccessorINS5_14TensorAccessorIN3c108ArrayRefIlEEKT0_Lm3ENS4_16DefaultPtrTraitsEiEENS_6detail16IndexBoundsCheckILm4EiEESC_Lm4ESD_iEENS6_INS7_ISA_SB_Lm3ESD_iEESH_SB_Lm4ESD_iEESI_NS6_INS7_ISA_SC_Lm0ESD_iEENSG_ILm1EiEESC_Lm1ESD_iEEbT1_iiiiiiiiiiiiii.num_vgpr, 19
	.set _ZN2at6native12_GLOBAL__N_131conv_depthwise2d_forward_kernelILi3EfiEEvN5torch10headeronly6detail27GenericPackedTensorAccessorINS5_14TensorAccessorIN3c108ArrayRefIlEEKT0_Lm3ENS4_16DefaultPtrTraitsEiEENS_6detail16IndexBoundsCheckILm4EiEESC_Lm4ESD_iEENS6_INS7_ISA_SB_Lm3ESD_iEESH_SB_Lm4ESD_iEESI_NS6_INS7_ISA_SC_Lm0ESD_iEENSG_ILm1EiEESC_Lm1ESD_iEEbT1_iiiiiiiiiiiiii.num_agpr, 0
	.set _ZN2at6native12_GLOBAL__N_131conv_depthwise2d_forward_kernelILi3EfiEEvN5torch10headeronly6detail27GenericPackedTensorAccessorINS5_14TensorAccessorIN3c108ArrayRefIlEEKT0_Lm3ENS4_16DefaultPtrTraitsEiEENS_6detail16IndexBoundsCheckILm4EiEESC_Lm4ESD_iEENS6_INS7_ISA_SB_Lm3ESD_iEESH_SB_Lm4ESD_iEESI_NS6_INS7_ISA_SC_Lm0ESD_iEENSG_ILm1EiEESC_Lm1ESD_iEEbT1_iiiiiiiiiiiiii.numbered_sgpr, 51
	.set _ZN2at6native12_GLOBAL__N_131conv_depthwise2d_forward_kernelILi3EfiEEvN5torch10headeronly6detail27GenericPackedTensorAccessorINS5_14TensorAccessorIN3c108ArrayRefIlEEKT0_Lm3ENS4_16DefaultPtrTraitsEiEENS_6detail16IndexBoundsCheckILm4EiEESC_Lm4ESD_iEENS6_INS7_ISA_SB_Lm3ESD_iEESH_SB_Lm4ESD_iEESI_NS6_INS7_ISA_SC_Lm0ESD_iEENSG_ILm1EiEESC_Lm1ESD_iEEbT1_iiiiiiiiiiiiii.num_named_barrier, 0
	.set _ZN2at6native12_GLOBAL__N_131conv_depthwise2d_forward_kernelILi3EfiEEvN5torch10headeronly6detail27GenericPackedTensorAccessorINS5_14TensorAccessorIN3c108ArrayRefIlEEKT0_Lm3ENS4_16DefaultPtrTraitsEiEENS_6detail16IndexBoundsCheckILm4EiEESC_Lm4ESD_iEENS6_INS7_ISA_SB_Lm3ESD_iEESH_SB_Lm4ESD_iEESI_NS6_INS7_ISA_SC_Lm0ESD_iEENSG_ILm1EiEESC_Lm1ESD_iEEbT1_iiiiiiiiiiiiii.private_seg_size, 0
	.set _ZN2at6native12_GLOBAL__N_131conv_depthwise2d_forward_kernelILi3EfiEEvN5torch10headeronly6detail27GenericPackedTensorAccessorINS5_14TensorAccessorIN3c108ArrayRefIlEEKT0_Lm3ENS4_16DefaultPtrTraitsEiEENS_6detail16IndexBoundsCheckILm4EiEESC_Lm4ESD_iEENS6_INS7_ISA_SB_Lm3ESD_iEESH_SB_Lm4ESD_iEESI_NS6_INS7_ISA_SC_Lm0ESD_iEENSG_ILm1EiEESC_Lm1ESD_iEEbT1_iiiiiiiiiiiiii.uses_vcc, 1
	.set _ZN2at6native12_GLOBAL__N_131conv_depthwise2d_forward_kernelILi3EfiEEvN5torch10headeronly6detail27GenericPackedTensorAccessorINS5_14TensorAccessorIN3c108ArrayRefIlEEKT0_Lm3ENS4_16DefaultPtrTraitsEiEENS_6detail16IndexBoundsCheckILm4EiEESC_Lm4ESD_iEENS6_INS7_ISA_SB_Lm3ESD_iEESH_SB_Lm4ESD_iEESI_NS6_INS7_ISA_SC_Lm0ESD_iEENSG_ILm1EiEESC_Lm1ESD_iEEbT1_iiiiiiiiiiiiii.uses_flat_scratch, 0
	.set _ZN2at6native12_GLOBAL__N_131conv_depthwise2d_forward_kernelILi3EfiEEvN5torch10headeronly6detail27GenericPackedTensorAccessorINS5_14TensorAccessorIN3c108ArrayRefIlEEKT0_Lm3ENS4_16DefaultPtrTraitsEiEENS_6detail16IndexBoundsCheckILm4EiEESC_Lm4ESD_iEENS6_INS7_ISA_SB_Lm3ESD_iEESH_SB_Lm4ESD_iEESI_NS6_INS7_ISA_SC_Lm0ESD_iEENSG_ILm1EiEESC_Lm1ESD_iEEbT1_iiiiiiiiiiiiii.has_dyn_sized_stack, 0
	.set _ZN2at6native12_GLOBAL__N_131conv_depthwise2d_forward_kernelILi3EfiEEvN5torch10headeronly6detail27GenericPackedTensorAccessorINS5_14TensorAccessorIN3c108ArrayRefIlEEKT0_Lm3ENS4_16DefaultPtrTraitsEiEENS_6detail16IndexBoundsCheckILm4EiEESC_Lm4ESD_iEENS6_INS7_ISA_SB_Lm3ESD_iEESH_SB_Lm4ESD_iEESI_NS6_INS7_ISA_SC_Lm0ESD_iEENSG_ILm1EiEESC_Lm1ESD_iEEbT1_iiiiiiiiiiiiii.has_recursion, 0
	.set _ZN2at6native12_GLOBAL__N_131conv_depthwise2d_forward_kernelILi3EfiEEvN5torch10headeronly6detail27GenericPackedTensorAccessorINS5_14TensorAccessorIN3c108ArrayRefIlEEKT0_Lm3ENS4_16DefaultPtrTraitsEiEENS_6detail16IndexBoundsCheckILm4EiEESC_Lm4ESD_iEENS6_INS7_ISA_SB_Lm3ESD_iEESH_SB_Lm4ESD_iEESI_NS6_INS7_ISA_SC_Lm0ESD_iEENSG_ILm1EiEESC_Lm1ESD_iEEbT1_iiiiiiiiiiiiii.has_indirect_call, 0
	.section	.AMDGPU.csdata,"",@progbits
; Kernel info:
; codeLenInByte = 2380
; TotalNumSgprs: 55
; NumVgprs: 19
; ScratchSize: 0
; MemoryBound: 0
; FloatMode: 240
; IeeeMode: 1
; LDSByteSize: 0 bytes/workgroup (compile time only)
; SGPRBlocks: 6
; VGPRBlocks: 4
; NumSGPRsForWavesPerEU: 55
; NumVGPRsForWavesPerEU: 19
; Occupancy: 10
; WaveLimiterHint : 0
; COMPUTE_PGM_RSRC2:SCRATCH_EN: 0
; COMPUTE_PGM_RSRC2:USER_SGPR: 6
; COMPUTE_PGM_RSRC2:TRAP_HANDLER: 0
; COMPUTE_PGM_RSRC2:TGID_X_EN: 1
; COMPUTE_PGM_RSRC2:TGID_Y_EN: 0
; COMPUTE_PGM_RSRC2:TGID_Z_EN: 0
; COMPUTE_PGM_RSRC2:TIDIG_COMP_CNT: 0
	.section	.text._ZN2at6native12_GLOBAL__N_131conv_depthwise2d_forward_kernelILi1EfiEEvN5torch10headeronly6detail27GenericPackedTensorAccessorINS5_14TensorAccessorIN3c108ArrayRefIlEEKT0_Lm3ENS4_16DefaultPtrTraitsEiEENS_6detail16IndexBoundsCheckILm4EiEESC_Lm4ESD_iEENS6_INS7_ISA_SB_Lm3ESD_iEESH_SB_Lm4ESD_iEESI_NS6_INS7_ISA_SC_Lm0ESD_iEENSG_ILm1EiEESC_Lm1ESD_iEEbT1_iiiiiiiiiiiiii,"axG",@progbits,_ZN2at6native12_GLOBAL__N_131conv_depthwise2d_forward_kernelILi1EfiEEvN5torch10headeronly6detail27GenericPackedTensorAccessorINS5_14TensorAccessorIN3c108ArrayRefIlEEKT0_Lm3ENS4_16DefaultPtrTraitsEiEENS_6detail16IndexBoundsCheckILm4EiEESC_Lm4ESD_iEENS6_INS7_ISA_SB_Lm3ESD_iEESH_SB_Lm4ESD_iEESI_NS6_INS7_ISA_SC_Lm0ESD_iEENSG_ILm1EiEESC_Lm1ESD_iEEbT1_iiiiiiiiiiiiii,comdat
	.globl	_ZN2at6native12_GLOBAL__N_131conv_depthwise2d_forward_kernelILi1EfiEEvN5torch10headeronly6detail27GenericPackedTensorAccessorINS5_14TensorAccessorIN3c108ArrayRefIlEEKT0_Lm3ENS4_16DefaultPtrTraitsEiEENS_6detail16IndexBoundsCheckILm4EiEESC_Lm4ESD_iEENS6_INS7_ISA_SB_Lm3ESD_iEESH_SB_Lm4ESD_iEESI_NS6_INS7_ISA_SC_Lm0ESD_iEENSG_ILm1EiEESC_Lm1ESD_iEEbT1_iiiiiiiiiiiiii ; -- Begin function _ZN2at6native12_GLOBAL__N_131conv_depthwise2d_forward_kernelILi1EfiEEvN5torch10headeronly6detail27GenericPackedTensorAccessorINS5_14TensorAccessorIN3c108ArrayRefIlEEKT0_Lm3ENS4_16DefaultPtrTraitsEiEENS_6detail16IndexBoundsCheckILm4EiEESC_Lm4ESD_iEENS6_INS7_ISA_SB_Lm3ESD_iEESH_SB_Lm4ESD_iEESI_NS6_INS7_ISA_SC_Lm0ESD_iEENSG_ILm1EiEESC_Lm1ESD_iEEbT1_iiiiiiiiiiiiii
	.p2align	8
	.type	_ZN2at6native12_GLOBAL__N_131conv_depthwise2d_forward_kernelILi1EfiEEvN5torch10headeronly6detail27GenericPackedTensorAccessorINS5_14TensorAccessorIN3c108ArrayRefIlEEKT0_Lm3ENS4_16DefaultPtrTraitsEiEENS_6detail16IndexBoundsCheckILm4EiEESC_Lm4ESD_iEENS6_INS7_ISA_SB_Lm3ESD_iEESH_SB_Lm4ESD_iEESI_NS6_INS7_ISA_SC_Lm0ESD_iEENSG_ILm1EiEESC_Lm1ESD_iEEbT1_iiiiiiiiiiiiii,@function
_ZN2at6native12_GLOBAL__N_131conv_depthwise2d_forward_kernelILi1EfiEEvN5torch10headeronly6detail27GenericPackedTensorAccessorINS5_14TensorAccessorIN3c108ArrayRefIlEEKT0_Lm3ENS4_16DefaultPtrTraitsEiEENS_6detail16IndexBoundsCheckILm4EiEESC_Lm4ESD_iEENS6_INS7_ISA_SB_Lm3ESD_iEESH_SB_Lm4ESD_iEESI_NS6_INS7_ISA_SC_Lm0ESD_iEENSG_ILm1EiEESC_Lm1ESD_iEEbT1_iiiiiiiiiiiiii: ; @_ZN2at6native12_GLOBAL__N_131conv_depthwise2d_forward_kernelILi1EfiEEvN5torch10headeronly6detail27GenericPackedTensorAccessorINS5_14TensorAccessorIN3c108ArrayRefIlEEKT0_Lm3ENS4_16DefaultPtrTraitsEiEENS_6detail16IndexBoundsCheckILm4EiEESC_Lm4ESD_iEENS6_INS7_ISA_SB_Lm3ESD_iEESH_SB_Lm4ESD_iEESI_NS6_INS7_ISA_SC_Lm0ESD_iEENSG_ILm1EiEESC_Lm1ESD_iEEbT1_iiiiiiiiiiiiii
; %bb.0:
	s_load_dword s0, s[4:5], 0xd4
	s_load_dwordx8 s[8:15], s[4:5], 0x88
	s_add_u32 s2, s4, 0xc8
	s_addc_u32 s3, s5, 0
	v_mov_b32_e32 v7, 0
	s_waitcnt lgkmcnt(0)
	s_and_b32 s7, s0, 0xffff
	s_mul_hi_u32 s33, s7, s6
	s_mul_i32 s36, s7, s6
	v_mov_b32_e32 v2, s33
	v_add_co_u32_e32 v1, vcc, s36, v0
	v_addc_co_u32_e32 v2, vcc, 0, v2, vcc
	s_ashr_i32 s21, s9, 31
	s_mov_b32 s20, s9
	v_cmp_gt_i64_e32 vcc, s[20:21], v[1:2]
	s_and_saveexec_b64 s[0:1], vcc
	s_cbranch_execz .LBB6_9
; %bb.1:
	s_bitcmp1_b32 s8, 0
	s_cselect_b64 s[8:9], -1, 0
	s_cmp_lg_u32 s11, 1
	s_cselect_b64 s[0:1], -1, 0
	s_abs_i32 s37, s14
	v_cvt_f32_u32_e32 v3, s37
	s_abs_i32 s39, s15
	v_cvt_f32_u32_e32 v4, s39
	s_load_dwordx4 s[16:19], s[4:5], 0xa8
	s_load_dwordx2 s[22:23], s[4:5], 0xb8
	v_rcp_iflag_f32_e32 v3, v3
	s_load_dwordx2 s[24:25], s[4:5], 0x0
	s_load_dwordx2 s[30:31], s[4:5], 0x28
	;; [unrolled: 1-line block ×4, first 2 shown]
	s_load_dword s6, s[2:3], 0x0
	v_rcp_iflag_f32_e32 v4, v4
	s_sub_i32 s2, 0, s37
	v_mul_f32_e32 v3, 0x4f7ffffe, v3
	v_cvt_u32_f32_e32 v3, v3
	s_abs_i32 s40, s10
	v_cvt_f32_u32_e32 v6, s40
	v_mul_f32_e32 v4, 0x4f7ffffe, v4
	v_mul_lo_u32 v5, s2, v3
	v_cvt_u32_f32_e32 v4, v4
	v_rcp_iflag_f32_e32 v6, v6
	s_sub_i32 s2, 0, s39
	v_mul_hi_u32 v5, v3, v5
	s_abs_i32 s42, s11
	v_mul_lo_u32 v9, s2, v4
	s_sub_i32 s2, 0, s40
	v_add_u32_e32 v8, v3, v5
	v_mul_f32_e32 v5, 0x4f7ffffe, v6
	v_cvt_f32_u32_e32 v6, s42
	v_mul_hi_u32 v3, v4, v9
	v_cvt_u32_f32_e32 v5, v5
	s_ashr_i32 s44, s10, 31
	v_rcp_iflag_f32_e32 v6, v6
	v_add_u32_e32 v9, v4, v3
	v_mul_lo_u32 v10, s2, v5
	s_sub_i32 s2, 0, s42
	v_mul_f32_e32 v4, 0x4f7ffffe, v6
	v_cvt_u32_f32_e32 v4, v4
	s_ashr_i32 s11, s11, 31
	s_waitcnt lgkmcnt(0)
	s_mul_i32 s38, s17, s16
	s_mul_i32 s16, s6, s7
	v_readfirstlane_b32 s3, v4
	s_mul_i32 s2, s2, s3
	s_mul_hi_u32 s2, s3, s2
	s_add_i32 s45, s3, s2
	s_mul_hi_u32 s3, s40, s45
	s_mul_i32 s4, s3, s42
	s_sub_i32 s4, s40, s4
	s_ashr_i32 s41, s14, 31
	s_ashr_i32 s43, s15, 31
	s_xor_b32 s2, s44, s11
	s_add_i32 s5, s3, 1
	s_sub_i32 s6, s4, s42
	v_mul_hi_u32 v3, v5, v10
	s_cmp_ge_u32 s4, s42
	s_cselect_b32 s3, s5, s3
	s_cselect_b32 s4, s6, s4
	s_add_i32 s5, s3, 1
	v_lshlrev_b64 v[1:2], 2, v[1:2]
	s_cmp_ge_u32 s4, s42
	v_add_u32_e32 v10, v5, v3
	s_cselect_b32 s3, s5, s3
	v_mov_b32_e32 v3, s31
	v_add_co_u32_e32 v1, vcc, s30, v1
	s_mov_b32 s17, 0
	s_xor_b32 s3, s3, s2
	v_addc_co_u32_e32 v2, vcc, v3, v2, vcc
	v_cndmask_b32_e64 v3, 0, 1, s[0:1]
	s_sub_i32 s46, s3, s2
	s_lshl_b64 s[30:31], s[16:17], 2
	s_sub_i32 s14, 0, s14
	s_mov_b64 s[34:35], 0
	v_cmp_ne_u32_e64 s[0:1], 1, v3
	s_branch .LBB6_3
.LBB6_2:                                ;   in Loop: Header=BB6_3 Depth=1
	s_or_b64 exec, exec, s[2:3]
	v_add_co_u32_e32 v0, vcc, s16, v0
	v_addc_co_u32_e32 v7, vcc, 0, v7, vcc
	v_mov_b32_e32 v4, s33
	v_add_co_u32_e32 v3, vcc, s36, v0
	v_addc_co_u32_e32 v4, vcc, v4, v7, vcc
	v_cmp_le_i64_e32 vcc, s[20:21], v[3:4]
	s_waitcnt vmcnt(0)
	global_store_dword v[1:2], v14, off
	v_mov_b32_e32 v3, s31
	s_or_b64 s[34:35], vcc, s[34:35]
	v_add_co_u32_e32 v1, vcc, s30, v1
	v_addc_co_u32_e32 v2, vcc, v2, v3, vcc
	s_andn2_b64 exec, exec, s[34:35]
	s_cbranch_execz .LBB6_9
.LBB6_3:                                ; =>This Inner Loop Header: Depth=1
	v_add_co_u32_e32 v3, vcc, s36, v0
	v_sub_u32_e32 v4, 0, v3
	v_max_i32_e32 v4, v3, v4
	v_mul_hi_u32 v5, v4, v8
	v_ashrrev_i32_e32 v11, 31, v3
	v_xor_b32_e32 v11, s41, v11
	s_mov_b32 s17, s10
	v_mul_lo_u32 v6, v5, s37
	v_add_u32_e32 v12, 1, v5
	v_sub_u32_e32 v4, v4, v6
	v_cmp_le_u32_e32 vcc, s37, v4
	v_subrev_u32_e32 v6, s37, v4
	v_cndmask_b32_e32 v5, v5, v12, vcc
	v_cndmask_b32_e32 v4, v4, v6, vcc
	v_add_u32_e32 v6, 1, v5
	v_cmp_le_u32_e32 vcc, s37, v4
	v_cndmask_b32_e32 v4, v5, v6, vcc
	v_xor_b32_e32 v4, v4, v11
	v_sub_u32_e32 v11, v4, v11
	v_sub_u32_e32 v4, 0, v11
	v_max_i32_e32 v4, v11, v4
	v_mul_hi_u32 v5, v4, v9
	v_ashrrev_i32_e32 v12, 31, v11
	v_xor_b32_e32 v12, s43, v12
	v_mul_lo_u32 v6, v5, s39
	v_add_u32_e32 v13, 1, v5
	v_sub_u32_e32 v4, v4, v6
	v_cmp_le_u32_e32 vcc, s39, v4
	v_subrev_u32_e32 v6, s39, v4
	v_cndmask_b32_e32 v5, v5, v13, vcc
	v_cndmask_b32_e32 v4, v4, v6, vcc
	v_add_u32_e32 v6, 1, v5
	v_cmp_le_u32_e32 vcc, s39, v4
	v_cndmask_b32_e32 v4, v5, v6, vcc
	v_xor_b32_e32 v4, v4, v12
	v_sub_u32_e32 v13, v4, v12
	v_sub_u32_e32 v4, 0, v13
	v_max_i32_e32 v4, v13, v4
	v_mul_hi_u32 v5, v4, v10
	v_ashrrev_i32_e32 v12, 31, v13
	v_xor_b32_e32 v12, s44, v12
	v_mul_lo_u32 v6, v5, s40
	v_add_u32_e32 v14, 1, v5
	v_sub_u32_e32 v4, v4, v6
	v_cmp_le_u32_e32 vcc, s40, v4
	v_subrev_u32_e32 v6, s40, v4
	v_cndmask_b32_e32 v5, v5, v14, vcc
	v_cndmask_b32_e32 v4, v4, v6, vcc
	v_add_u32_e32 v6, 1, v5
	v_cmp_le_u32_e32 vcc, s40, v4
	v_cndmask_b32_e32 v4, v5, v6, vcc
	v_xor_b32_e32 v4, v4, v12
	v_sub_u32_e32 v12, v4, v12
	v_mul_lo_u32 v4, v12, s10
	s_and_b64 vcc, exec, s[0:1]
	v_sub_u32_e32 v4, v13, v4
	v_ashrrev_i32_e32 v5, 31, v4
	v_mov_b32_e32 v6, v4
	s_cbranch_vccnz .LBB6_5
; %bb.4:                                ;   in Loop: Header=BB6_3 Depth=1
	v_sub_u32_e32 v6, 0, v4
	v_max_i32_e32 v6, v4, v6
	v_mul_hi_u32 v14, v6, s45
	v_xor_b32_e32 v16, s11, v5
	s_mov_b32 s17, s46
	v_mul_lo_u32 v15, v14, s42
	v_add_u32_e32 v17, 1, v14
	v_sub_u32_e32 v6, v6, v15
	v_cmp_le_u32_e32 vcc, s42, v6
	v_subrev_u32_e32 v15, s42, v6
	v_cndmask_b32_e32 v14, v14, v17, vcc
	v_cndmask_b32_e32 v6, v6, v15, vcc
	v_add_u32_e32 v15, 1, v14
	v_cmp_le_u32_e32 vcc, s42, v6
	v_cndmask_b32_e32 v6, v14, v15, vcc
	v_xor_b32_e32 v6, v6, v16
	v_sub_u32_e32 v6, v6, v16
.LBB6_5:                                ;   in Loop: Header=BB6_3 Depth=1
	s_andn2_b64 vcc, exec, s[8:9]
	v_mov_b32_e32 v14, 0
	s_cbranch_vccnz .LBB6_7
; %bb.6:                                ;   in Loop: Header=BB6_3 Depth=1
	v_lshlrev_b64 v[14:15], 2, v[4:5]
	v_mov_b32_e32 v5, s29
	v_add_co_u32_e32 v14, vcc, s28, v14
	v_addc_co_u32_e32 v15, vcc, v5, v15, vcc
	global_load_dword v14, v[14:15], off
.LBB6_7:                                ;   in Loop: Header=BB6_3 Depth=1
	v_mul_lo_u32 v5, v13, s15
	v_mad_u64_u32 v[15:16], s[2:3], s14, v11, v[3:4]
	v_sub_u32_e32 v3, v11, v5
	v_mul_lo_u32 v5, v15, s18
	v_mul_lo_u32 v11, v3, s19
	v_subrev_u32_e32 v3, s22, v5
	v_subrev_u32_e32 v5, s23, v11
	v_cmp_gt_i32_e32 vcc, 0, v3
	v_cmp_gt_i32_e64 s[2:3], 0, v5
	v_cmp_le_i32_e64 s[4:5], s13, v5
	v_cmp_le_i32_e64 s[6:7], s12, v3
	s_or_b64 s[6:7], vcc, s[6:7]
	s_or_b64 s[2:3], s[2:3], s[4:5]
	s_nor_b64 s[4:5], s[2:3], s[6:7]
	s_and_saveexec_b64 s[2:3], s[4:5]
	s_cbranch_execz .LBB6_2
; %bb.8:                                ;   in Loop: Header=BB6_3 Depth=1
	v_mad_u64_u32 v[11:12], s[4:5], s17, v12, v[6:7]
	v_mul_lo_u32 v4, s38, v4
	v_mov_b32_e32 v13, s25
	v_mad_u64_u32 v[5:6], s[4:5], v11, s13, v[5:6]
	v_mad_u64_u32 v[11:12], s[4:5], v5, s12, v[3:4]
	v_ashrrev_i32_e32 v5, 31, v4
	v_lshlrev_b64 v[3:4], 2, v[4:5]
	v_ashrrev_i32_e32 v12, 31, v11
	v_lshlrev_b64 v[5:6], 2, v[11:12]
	v_mov_b32_e32 v11, s27
	v_add_co_u32_e32 v5, vcc, s24, v5
	v_addc_co_u32_e32 v6, vcc, v13, v6, vcc
	v_add_co_u32_e32 v3, vcc, s26, v3
	v_addc_co_u32_e32 v4, vcc, v11, v4, vcc
	global_load_dword v11, v[3:4], off
	global_load_dword v12, v[5:6], off
	s_waitcnt vmcnt(0)
	v_fmac_f32_e32 v14, v11, v12
	s_branch .LBB6_2
.LBB6_9:
	s_endpgm
	.section	.rodata,"a",@progbits
	.p2align	6, 0x0
	.amdhsa_kernel _ZN2at6native12_GLOBAL__N_131conv_depthwise2d_forward_kernelILi1EfiEEvN5torch10headeronly6detail27GenericPackedTensorAccessorINS5_14TensorAccessorIN3c108ArrayRefIlEEKT0_Lm3ENS4_16DefaultPtrTraitsEiEENS_6detail16IndexBoundsCheckILm4EiEESC_Lm4ESD_iEENS6_INS7_ISA_SB_Lm3ESD_iEESH_SB_Lm4ESD_iEESI_NS6_INS7_ISA_SC_Lm0ESD_iEENSG_ILm1EiEESC_Lm1ESD_iEEbT1_iiiiiiiiiiiiii
		.amdhsa_group_segment_fixed_size 0
		.amdhsa_private_segment_fixed_size 0
		.amdhsa_kernarg_size 456
		.amdhsa_user_sgpr_count 6
		.amdhsa_user_sgpr_private_segment_buffer 1
		.amdhsa_user_sgpr_dispatch_ptr 0
		.amdhsa_user_sgpr_queue_ptr 0
		.amdhsa_user_sgpr_kernarg_segment_ptr 1
		.amdhsa_user_sgpr_dispatch_id 0
		.amdhsa_user_sgpr_flat_scratch_init 0
		.amdhsa_user_sgpr_private_segment_size 0
		.amdhsa_uses_dynamic_stack 0
		.amdhsa_system_sgpr_private_segment_wavefront_offset 0
		.amdhsa_system_sgpr_workgroup_id_x 1
		.amdhsa_system_sgpr_workgroup_id_y 0
		.amdhsa_system_sgpr_workgroup_id_z 0
		.amdhsa_system_sgpr_workgroup_info 0
		.amdhsa_system_vgpr_workitem_id 0
		.amdhsa_next_free_vgpr 18
		.amdhsa_next_free_sgpr 47
		.amdhsa_reserve_vcc 1
		.amdhsa_reserve_flat_scratch 0
		.amdhsa_float_round_mode_32 0
		.amdhsa_float_round_mode_16_64 0
		.amdhsa_float_denorm_mode_32 3
		.amdhsa_float_denorm_mode_16_64 3
		.amdhsa_dx10_clamp 1
		.amdhsa_ieee_mode 1
		.amdhsa_fp16_overflow 0
		.amdhsa_exception_fp_ieee_invalid_op 0
		.amdhsa_exception_fp_denorm_src 0
		.amdhsa_exception_fp_ieee_div_zero 0
		.amdhsa_exception_fp_ieee_overflow 0
		.amdhsa_exception_fp_ieee_underflow 0
		.amdhsa_exception_fp_ieee_inexact 0
		.amdhsa_exception_int_div_zero 0
	.end_amdhsa_kernel
	.section	.text._ZN2at6native12_GLOBAL__N_131conv_depthwise2d_forward_kernelILi1EfiEEvN5torch10headeronly6detail27GenericPackedTensorAccessorINS5_14TensorAccessorIN3c108ArrayRefIlEEKT0_Lm3ENS4_16DefaultPtrTraitsEiEENS_6detail16IndexBoundsCheckILm4EiEESC_Lm4ESD_iEENS6_INS7_ISA_SB_Lm3ESD_iEESH_SB_Lm4ESD_iEESI_NS6_INS7_ISA_SC_Lm0ESD_iEENSG_ILm1EiEESC_Lm1ESD_iEEbT1_iiiiiiiiiiiiii,"axG",@progbits,_ZN2at6native12_GLOBAL__N_131conv_depthwise2d_forward_kernelILi1EfiEEvN5torch10headeronly6detail27GenericPackedTensorAccessorINS5_14TensorAccessorIN3c108ArrayRefIlEEKT0_Lm3ENS4_16DefaultPtrTraitsEiEENS_6detail16IndexBoundsCheckILm4EiEESC_Lm4ESD_iEENS6_INS7_ISA_SB_Lm3ESD_iEESH_SB_Lm4ESD_iEESI_NS6_INS7_ISA_SC_Lm0ESD_iEENSG_ILm1EiEESC_Lm1ESD_iEEbT1_iiiiiiiiiiiiii,comdat
.Lfunc_end6:
	.size	_ZN2at6native12_GLOBAL__N_131conv_depthwise2d_forward_kernelILi1EfiEEvN5torch10headeronly6detail27GenericPackedTensorAccessorINS5_14TensorAccessorIN3c108ArrayRefIlEEKT0_Lm3ENS4_16DefaultPtrTraitsEiEENS_6detail16IndexBoundsCheckILm4EiEESC_Lm4ESD_iEENS6_INS7_ISA_SB_Lm3ESD_iEESH_SB_Lm4ESD_iEESI_NS6_INS7_ISA_SC_Lm0ESD_iEENSG_ILm1EiEESC_Lm1ESD_iEEbT1_iiiiiiiiiiiiii, .Lfunc_end6-_ZN2at6native12_GLOBAL__N_131conv_depthwise2d_forward_kernelILi1EfiEEvN5torch10headeronly6detail27GenericPackedTensorAccessorINS5_14TensorAccessorIN3c108ArrayRefIlEEKT0_Lm3ENS4_16DefaultPtrTraitsEiEENS_6detail16IndexBoundsCheckILm4EiEESC_Lm4ESD_iEENS6_INS7_ISA_SB_Lm3ESD_iEESH_SB_Lm4ESD_iEESI_NS6_INS7_ISA_SC_Lm0ESD_iEENSG_ILm1EiEESC_Lm1ESD_iEEbT1_iiiiiiiiiiiiii
                                        ; -- End function
	.set _ZN2at6native12_GLOBAL__N_131conv_depthwise2d_forward_kernelILi1EfiEEvN5torch10headeronly6detail27GenericPackedTensorAccessorINS5_14TensorAccessorIN3c108ArrayRefIlEEKT0_Lm3ENS4_16DefaultPtrTraitsEiEENS_6detail16IndexBoundsCheckILm4EiEESC_Lm4ESD_iEENS6_INS7_ISA_SB_Lm3ESD_iEESH_SB_Lm4ESD_iEESI_NS6_INS7_ISA_SC_Lm0ESD_iEENSG_ILm1EiEESC_Lm1ESD_iEEbT1_iiiiiiiiiiiiii.num_vgpr, 18
	.set _ZN2at6native12_GLOBAL__N_131conv_depthwise2d_forward_kernelILi1EfiEEvN5torch10headeronly6detail27GenericPackedTensorAccessorINS5_14TensorAccessorIN3c108ArrayRefIlEEKT0_Lm3ENS4_16DefaultPtrTraitsEiEENS_6detail16IndexBoundsCheckILm4EiEESC_Lm4ESD_iEENS6_INS7_ISA_SB_Lm3ESD_iEESH_SB_Lm4ESD_iEESI_NS6_INS7_ISA_SC_Lm0ESD_iEENSG_ILm1EiEESC_Lm1ESD_iEEbT1_iiiiiiiiiiiiii.num_agpr, 0
	.set _ZN2at6native12_GLOBAL__N_131conv_depthwise2d_forward_kernelILi1EfiEEvN5torch10headeronly6detail27GenericPackedTensorAccessorINS5_14TensorAccessorIN3c108ArrayRefIlEEKT0_Lm3ENS4_16DefaultPtrTraitsEiEENS_6detail16IndexBoundsCheckILm4EiEESC_Lm4ESD_iEENS6_INS7_ISA_SB_Lm3ESD_iEESH_SB_Lm4ESD_iEESI_NS6_INS7_ISA_SC_Lm0ESD_iEENSG_ILm1EiEESC_Lm1ESD_iEEbT1_iiiiiiiiiiiiii.numbered_sgpr, 47
	.set _ZN2at6native12_GLOBAL__N_131conv_depthwise2d_forward_kernelILi1EfiEEvN5torch10headeronly6detail27GenericPackedTensorAccessorINS5_14TensorAccessorIN3c108ArrayRefIlEEKT0_Lm3ENS4_16DefaultPtrTraitsEiEENS_6detail16IndexBoundsCheckILm4EiEESC_Lm4ESD_iEENS6_INS7_ISA_SB_Lm3ESD_iEESH_SB_Lm4ESD_iEESI_NS6_INS7_ISA_SC_Lm0ESD_iEENSG_ILm1EiEESC_Lm1ESD_iEEbT1_iiiiiiiiiiiiii.num_named_barrier, 0
	.set _ZN2at6native12_GLOBAL__N_131conv_depthwise2d_forward_kernelILi1EfiEEvN5torch10headeronly6detail27GenericPackedTensorAccessorINS5_14TensorAccessorIN3c108ArrayRefIlEEKT0_Lm3ENS4_16DefaultPtrTraitsEiEENS_6detail16IndexBoundsCheckILm4EiEESC_Lm4ESD_iEENS6_INS7_ISA_SB_Lm3ESD_iEESH_SB_Lm4ESD_iEESI_NS6_INS7_ISA_SC_Lm0ESD_iEENSG_ILm1EiEESC_Lm1ESD_iEEbT1_iiiiiiiiiiiiii.private_seg_size, 0
	.set _ZN2at6native12_GLOBAL__N_131conv_depthwise2d_forward_kernelILi1EfiEEvN5torch10headeronly6detail27GenericPackedTensorAccessorINS5_14TensorAccessorIN3c108ArrayRefIlEEKT0_Lm3ENS4_16DefaultPtrTraitsEiEENS_6detail16IndexBoundsCheckILm4EiEESC_Lm4ESD_iEENS6_INS7_ISA_SB_Lm3ESD_iEESH_SB_Lm4ESD_iEESI_NS6_INS7_ISA_SC_Lm0ESD_iEENSG_ILm1EiEESC_Lm1ESD_iEEbT1_iiiiiiiiiiiiii.uses_vcc, 1
	.set _ZN2at6native12_GLOBAL__N_131conv_depthwise2d_forward_kernelILi1EfiEEvN5torch10headeronly6detail27GenericPackedTensorAccessorINS5_14TensorAccessorIN3c108ArrayRefIlEEKT0_Lm3ENS4_16DefaultPtrTraitsEiEENS_6detail16IndexBoundsCheckILm4EiEESC_Lm4ESD_iEENS6_INS7_ISA_SB_Lm3ESD_iEESH_SB_Lm4ESD_iEESI_NS6_INS7_ISA_SC_Lm0ESD_iEENSG_ILm1EiEESC_Lm1ESD_iEEbT1_iiiiiiiiiiiiii.uses_flat_scratch, 0
	.set _ZN2at6native12_GLOBAL__N_131conv_depthwise2d_forward_kernelILi1EfiEEvN5torch10headeronly6detail27GenericPackedTensorAccessorINS5_14TensorAccessorIN3c108ArrayRefIlEEKT0_Lm3ENS4_16DefaultPtrTraitsEiEENS_6detail16IndexBoundsCheckILm4EiEESC_Lm4ESD_iEENS6_INS7_ISA_SB_Lm3ESD_iEESH_SB_Lm4ESD_iEESI_NS6_INS7_ISA_SC_Lm0ESD_iEENSG_ILm1EiEESC_Lm1ESD_iEEbT1_iiiiiiiiiiiiii.has_dyn_sized_stack, 0
	.set _ZN2at6native12_GLOBAL__N_131conv_depthwise2d_forward_kernelILi1EfiEEvN5torch10headeronly6detail27GenericPackedTensorAccessorINS5_14TensorAccessorIN3c108ArrayRefIlEEKT0_Lm3ENS4_16DefaultPtrTraitsEiEENS_6detail16IndexBoundsCheckILm4EiEESC_Lm4ESD_iEENS6_INS7_ISA_SB_Lm3ESD_iEESH_SB_Lm4ESD_iEESI_NS6_INS7_ISA_SC_Lm0ESD_iEENSG_ILm1EiEESC_Lm1ESD_iEEbT1_iiiiiiiiiiiiii.has_recursion, 0
	.set _ZN2at6native12_GLOBAL__N_131conv_depthwise2d_forward_kernelILi1EfiEEvN5torch10headeronly6detail27GenericPackedTensorAccessorINS5_14TensorAccessorIN3c108ArrayRefIlEEKT0_Lm3ENS4_16DefaultPtrTraitsEiEENS_6detail16IndexBoundsCheckILm4EiEESC_Lm4ESD_iEENS6_INS7_ISA_SB_Lm3ESD_iEESH_SB_Lm4ESD_iEESI_NS6_INS7_ISA_SC_Lm0ESD_iEENSG_ILm1EiEESC_Lm1ESD_iEEbT1_iiiiiiiiiiiiii.has_indirect_call, 0
	.section	.AMDGPU.csdata,"",@progbits
; Kernel info:
; codeLenInByte = 1132
; TotalNumSgprs: 51
; NumVgprs: 18
; ScratchSize: 0
; MemoryBound: 0
; FloatMode: 240
; IeeeMode: 1
; LDSByteSize: 0 bytes/workgroup (compile time only)
; SGPRBlocks: 6
; VGPRBlocks: 4
; NumSGPRsForWavesPerEU: 51
; NumVGPRsForWavesPerEU: 18
; Occupancy: 10
; WaveLimiterHint : 0
; COMPUTE_PGM_RSRC2:SCRATCH_EN: 0
; COMPUTE_PGM_RSRC2:USER_SGPR: 6
; COMPUTE_PGM_RSRC2:TRAP_HANDLER: 0
; COMPUTE_PGM_RSRC2:TGID_X_EN: 1
; COMPUTE_PGM_RSRC2:TGID_Y_EN: 0
; COMPUTE_PGM_RSRC2:TGID_Z_EN: 0
; COMPUTE_PGM_RSRC2:TIDIG_COMP_CNT: 0
	.section	.text._ZN2at6native12_GLOBAL__N_139conv_depthwise2d_forward_kernel_genericIfiEEvN5torch10headeronly6detail27GenericPackedTensorAccessorINS5_14TensorAccessorIN3c108ArrayRefIlEEKT_Lm3ENS4_16DefaultPtrTraitsEiEENS_6detail16IndexBoundsCheckILm4EiEESC_Lm4ESD_iEENS6_INS7_ISA_SB_Lm3ESD_iEESH_SB_Lm4ESD_iEESI_NS6_INS7_ISA_SC_Lm0ESD_iEENSG_ILm1EiEESC_Lm1ESD_iEEbT0_iiiiiiiiiiiiii,"axG",@progbits,_ZN2at6native12_GLOBAL__N_139conv_depthwise2d_forward_kernel_genericIfiEEvN5torch10headeronly6detail27GenericPackedTensorAccessorINS5_14TensorAccessorIN3c108ArrayRefIlEEKT_Lm3ENS4_16DefaultPtrTraitsEiEENS_6detail16IndexBoundsCheckILm4EiEESC_Lm4ESD_iEENS6_INS7_ISA_SB_Lm3ESD_iEESH_SB_Lm4ESD_iEESI_NS6_INS7_ISA_SC_Lm0ESD_iEENSG_ILm1EiEESC_Lm1ESD_iEEbT0_iiiiiiiiiiiiii,comdat
	.globl	_ZN2at6native12_GLOBAL__N_139conv_depthwise2d_forward_kernel_genericIfiEEvN5torch10headeronly6detail27GenericPackedTensorAccessorINS5_14TensorAccessorIN3c108ArrayRefIlEEKT_Lm3ENS4_16DefaultPtrTraitsEiEENS_6detail16IndexBoundsCheckILm4EiEESC_Lm4ESD_iEENS6_INS7_ISA_SB_Lm3ESD_iEESH_SB_Lm4ESD_iEESI_NS6_INS7_ISA_SC_Lm0ESD_iEENSG_ILm1EiEESC_Lm1ESD_iEEbT0_iiiiiiiiiiiiii ; -- Begin function _ZN2at6native12_GLOBAL__N_139conv_depthwise2d_forward_kernel_genericIfiEEvN5torch10headeronly6detail27GenericPackedTensorAccessorINS5_14TensorAccessorIN3c108ArrayRefIlEEKT_Lm3ENS4_16DefaultPtrTraitsEiEENS_6detail16IndexBoundsCheckILm4EiEESC_Lm4ESD_iEENS6_INS7_ISA_SB_Lm3ESD_iEESH_SB_Lm4ESD_iEESI_NS6_INS7_ISA_SC_Lm0ESD_iEENSG_ILm1EiEESC_Lm1ESD_iEEbT0_iiiiiiiiiiiiii
	.p2align	8
	.type	_ZN2at6native12_GLOBAL__N_139conv_depthwise2d_forward_kernel_genericIfiEEvN5torch10headeronly6detail27GenericPackedTensorAccessorINS5_14TensorAccessorIN3c108ArrayRefIlEEKT_Lm3ENS4_16DefaultPtrTraitsEiEENS_6detail16IndexBoundsCheckILm4EiEESC_Lm4ESD_iEENS6_INS7_ISA_SB_Lm3ESD_iEESH_SB_Lm4ESD_iEESI_NS6_INS7_ISA_SC_Lm0ESD_iEENSG_ILm1EiEESC_Lm1ESD_iEEbT0_iiiiiiiiiiiiii,@function
_ZN2at6native12_GLOBAL__N_139conv_depthwise2d_forward_kernel_genericIfiEEvN5torch10headeronly6detail27GenericPackedTensorAccessorINS5_14TensorAccessorIN3c108ArrayRefIlEEKT_Lm3ENS4_16DefaultPtrTraitsEiEENS_6detail16IndexBoundsCheckILm4EiEESC_Lm4ESD_iEENS6_INS7_ISA_SB_Lm3ESD_iEESH_SB_Lm4ESD_iEESI_NS6_INS7_ISA_SC_Lm0ESD_iEENSG_ILm1EiEESC_Lm1ESD_iEEbT0_iiiiiiiiiiiiii: ; @_ZN2at6native12_GLOBAL__N_139conv_depthwise2d_forward_kernel_genericIfiEEvN5torch10headeronly6detail27GenericPackedTensorAccessorINS5_14TensorAccessorIN3c108ArrayRefIlEEKT_Lm3ENS4_16DefaultPtrTraitsEiEENS_6detail16IndexBoundsCheckILm4EiEESC_Lm4ESD_iEENS6_INS7_ISA_SB_Lm3ESD_iEESH_SB_Lm4ESD_iEESI_NS6_INS7_ISA_SC_Lm0ESD_iEENSG_ILm1EiEESC_Lm1ESD_iEEbT0_iiiiiiiiiiiiii
; %bb.0:
	s_load_dword s0, s[4:5], 0xd4
	s_load_dwordx16 s[8:23], s[4:5], 0x88
	s_add_u32 s2, s4, 0xc8
	s_addc_u32 s3, s5, 0
	v_mov_b32_e32 v1, 0
	s_waitcnt lgkmcnt(0)
	s_and_b32 s34, s0, 0xffff
	v_mov_b32_e32 v2, s6
	v_mad_u64_u32 v[0:1], s[0:1], s34, v2, v[0:1]
	s_ashr_i32 s7, s9, 31
	s_mov_b32 s6, s9
	v_cmp_gt_i64_e32 vcc, s[6:7], v[0:1]
	s_and_saveexec_b64 s[0:1], vcc
	s_cbranch_execz .LBB7_23
; %bb.1:
	s_bitcmp1_b32 s8, 0
	s_cselect_b64 s[8:9], -1, 0
	s_cmp_lg_u32 s11, 1
	s_cselect_b64 s[0:1], -1, 0
	s_abs_i32 s33, s14
	v_cvt_f32_u32_e32 v2, s33
	s_load_dwordx2 s[24:25], s[4:5], 0x0
	s_load_dwordx2 s[26:27], s[4:5], 0x28
	;; [unrolled: 1-line block ×4, first 2 shown]
	s_load_dword s35, s[2:3], 0x0
	s_sub_i32 s3, 0, s33
	s_abs_i32 s43, s15
	v_rcp_iflag_f32_e32 v2, v2
	v_cvt_f32_u32_e32 v4, s43
	s_abs_i32 s48, s10
	s_abs_i32 s49, s11
	v_mul_f32_e32 v2, 0x4f7ffffe, v2
	v_cvt_u32_f32_e32 v2, v2
	v_cvt_f32_u32_e32 v5, s49
	v_rcp_iflag_f32_e32 v4, v4
	s_add_i32 s2, s17, -1
	v_mul_lo_u32 v3, s3, v2
	v_rcp_iflag_f32_e32 v5, v5
	s_mul_i32 s2, s23, s2
	s_sub_i32 s42, s2, s13
	v_mul_hi_u32 v3, v2, v3
	v_mul_f32_e32 v5, 0x4f7ffffe, v5
	s_add_i32 s2, s16, -1
	v_cvt_u32_f32_e32 v5, v5
	v_add_u32_e32 v9, v2, v3
	v_cvt_f32_u32_e32 v3, s48
	v_mul_f32_e32 v2, 0x4f7ffffe, v4
	v_cvt_u32_f32_e32 v2, v2
	s_mul_i32 s2, s22, s2
	v_rcp_iflag_f32_e32 v3, v3
	s_sub_i32 s44, s2, s12
	s_sub_i32 s2, 0, s43
	v_mul_lo_u32 v4, s2, v2
	v_mul_f32_e32 v3, 0x4f7ffffe, v3
	v_cvt_u32_f32_e32 v3, v3
	s_sub_i32 s2, 0, s48
	v_readfirstlane_b32 s3, v5
	s_ashr_i32 s50, s10, 31
	v_mul_lo_u32 v6, s2, v3
	s_sub_i32 s2, 0, s49
	s_mul_i32 s2, s2, s3
	s_mul_hi_u32 s2, s3, s2
	s_add_i32 s51, s3, s2
	s_mul_hi_u32 s3, s48, s51
	s_mul_i32 s4, s3, s49
	s_ashr_i32 s11, s11, 31
	s_sub_i32 s4, s48, s4
	s_waitcnt lgkmcnt(0)
	s_mul_i32 s45, s35, s34
	s_ashr_i32 s46, s14, 31
	s_ashr_i32 s47, s15, 31
	s_xor_b32 s2, s50, s11
	s_add_i32 s5, s3, 1
	s_sub_i32 s34, s4, s49
	s_cmp_ge_u32 s4, s49
	s_cselect_b32 s3, s5, s3
	s_cselect_b32 s4, s34, s4
	s_add_i32 s5, s3, 1
	s_cmp_ge_u32 s4, s49
	s_cselect_b32 s3, s5, s3
	s_abs_i32 s52, s23
	v_cvt_f32_u32_e32 v5, s52
	s_abs_i32 s53, s22
	v_mul_hi_u32 v4, v2, v4
	v_cvt_f32_u32_e32 v7, s53
	v_mul_hi_u32 v6, v3, v6
	v_rcp_iflag_f32_e32 v5, v5
	v_add_u32_e32 v10, v2, v4
	v_rcp_iflag_f32_e32 v2, v7
	v_add_u32_e32 v11, v3, v6
	v_mul_f32_e32 v3, 0x4f7ffffe, v5
	v_cvt_u32_f32_e32 v3, v3
	v_mul_f32_e32 v2, 0x4f7ffffe, v2
	v_cvt_u32_f32_e32 v2, v2
	s_sub_i32 s4, 0, s52
	v_mul_lo_u32 v4, s4, v3
	s_sub_i32 s4, 0, s53
	v_mul_lo_u32 v5, s4, v2
	s_xor_b32 s3, s3, s2
	v_mul_hi_u32 v4, v3, v4
	s_sub_i32 s54, s3, s2
	v_mul_hi_u32 v5, v2, v5
	s_ashr_i32 s55, s23, 31
	v_add_u32_e32 v12, v3, v4
	s_ashr_i32 s56, s22, 31
	v_add_u32_e32 v13, v2, v5
	v_cndmask_b32_e64 v2, 0, 1, s[0:1]
	s_sub_i32 s57, 0, s20
	s_sub_i32 s58, 0, s21
	s_mul_i32 s59, s23, s12
	s_mov_b64 s[4:5], 0
	v_cmp_ne_u32_e64 s[0:1], 1, v2
	s_branch .LBB7_4
.LBB7_2:                                ;   in Loop: Header=BB7_4 Depth=1
	s_or_b64 exec, exec, s[36:37]
.LBB7_3:                                ;   in Loop: Header=BB7_4 Depth=1
	s_or_b64 exec, exec, s[34:35]
	v_lshlrev_b64 v[2:3], 2, v[0:1]
	v_add_co_u32_e32 v0, vcc, s45, v0
	v_addc_co_u32_e32 v1, vcc, 0, v1, vcc
	v_cmp_le_i64_e32 vcc, s[6:7], v[0:1]
	v_mov_b32_e32 v4, s27
	v_add_co_u32_e64 v2, s[2:3], s26, v2
	v_addc_co_u32_e64 v3, s[2:3], v4, v3, s[2:3]
	s_or_b64 s[4:5], vcc, s[4:5]
	s_waitcnt vmcnt(0)
	global_store_dword v[2:3], v16, off
	s_andn2_b64 exec, exec, s[4:5]
	s_cbranch_execz .LBB7_23
.LBB7_4:                                ; =>This Loop Header: Depth=1
                                        ;     Child Loop BB7_19 Depth 2
                                        ;       Child Loop BB7_21 Depth 3
	v_sub_u32_e32 v2, 0, v0
	v_max_i32_e32 v2, v0, v2
	v_mul_hi_u32 v3, v2, v9
	v_ashrrev_i32_e32 v5, 31, v0
	v_xor_b32_e32 v5, s46, v5
	s_mov_b32 s36, s10
	v_mul_lo_u32 v4, v3, s33
	v_add_u32_e32 v6, 1, v3
	v_sub_u32_e32 v2, v2, v4
	v_cmp_le_u32_e32 vcc, s33, v2
	v_subrev_u32_e32 v4, s33, v2
	v_cndmask_b32_e32 v3, v3, v6, vcc
	v_cndmask_b32_e32 v2, v2, v4, vcc
	v_add_u32_e32 v4, 1, v3
	v_cmp_le_u32_e32 vcc, s33, v2
	v_cndmask_b32_e32 v2, v3, v4, vcc
	v_xor_b32_e32 v2, v2, v5
	v_sub_u32_e32 v6, v2, v5
	v_sub_u32_e32 v2, 0, v6
	v_max_i32_e32 v2, v6, v2
	v_mul_hi_u32 v3, v2, v10
	v_ashrrev_i32_e32 v5, 31, v6
	v_xor_b32_e32 v5, s47, v5
	v_mul_lo_u32 v4, v3, s43
	v_add_u32_e32 v7, 1, v3
	v_sub_u32_e32 v2, v2, v4
	v_cmp_le_u32_e32 vcc, s43, v2
	v_subrev_u32_e32 v4, s43, v2
	v_cndmask_b32_e32 v3, v3, v7, vcc
	v_cndmask_b32_e32 v2, v2, v4, vcc
	v_add_u32_e32 v4, 1, v3
	v_cmp_le_u32_e32 vcc, s43, v2
	v_cndmask_b32_e32 v2, v3, v4, vcc
	v_xor_b32_e32 v2, v2, v5
	v_sub_u32_e32 v2, v2, v5
	v_sub_u32_e32 v3, 0, v2
	v_max_i32_e32 v3, v2, v3
	v_mul_hi_u32 v4, v3, v11
	v_ashrrev_i32_e32 v7, 31, v2
	v_xor_b32_e32 v7, s50, v7
	v_mul_lo_u32 v5, v4, s48
	v_add_u32_e32 v8, 1, v4
	v_sub_u32_e32 v3, v3, v5
	v_cmp_le_u32_e32 vcc, s48, v3
	v_subrev_u32_e32 v5, s48, v3
	v_cndmask_b32_e32 v4, v4, v8, vcc
	v_cndmask_b32_e32 v3, v3, v5, vcc
	v_add_u32_e32 v5, 1, v4
	v_cmp_le_u32_e32 vcc, s48, v3
	v_cndmask_b32_e32 v3, v4, v5, vcc
	v_xor_b32_e32 v3, v3, v7
	v_sub_u32_e32 v7, v3, v7
	v_mul_lo_u32 v3, v7, s10
	s_and_b64 vcc, exec, s[0:1]
	v_sub_u32_e32 v3, v2, v3
	v_ashrrev_i32_e32 v4, 31, v3
	v_mov_b32_e32 v5, v3
	s_cbranch_vccnz .LBB7_6
; %bb.5:                                ;   in Loop: Header=BB7_4 Depth=1
	v_sub_u32_e32 v5, 0, v3
	v_max_i32_e32 v5, v3, v5
	v_mul_hi_u32 v8, v5, s51
	v_xor_b32_e32 v15, s11, v4
	s_mov_b32 s36, s54
	v_mul_lo_u32 v14, v8, s49
	v_add_u32_e32 v16, 1, v8
	v_sub_u32_e32 v5, v5, v14
	v_cmp_le_u32_e32 vcc, s49, v5
	v_subrev_u32_e32 v14, s49, v5
	v_cndmask_b32_e32 v8, v8, v16, vcc
	v_cndmask_b32_e32 v5, v5, v14, vcc
	v_add_u32_e32 v14, 1, v8
	v_cmp_le_u32_e32 vcc, s49, v5
	v_cndmask_b32_e32 v5, v8, v14, vcc
	v_xor_b32_e32 v5, v5, v15
	v_sub_u32_e32 v5, v5, v15
.LBB7_6:                                ;   in Loop: Header=BB7_4 Depth=1
	v_mul_lo_u32 v2, v2, s15
	v_sub_u32_e32 v2, v6, v2
	v_mul_lo_u32 v8, v2, s19
	v_mov_b32_e32 v2, 0
	v_subrev_u32_e32 v14, s21, v8
	v_cmp_gt_i32_e32 vcc, 0, v14
	s_and_saveexec_b64 s[2:3], vcc
	s_cbranch_execz .LBB7_8
; %bb.7:                                ;   in Loop: Header=BB7_4 Depth=1
	v_sub_u32_e32 v2, 0, v14
	v_max_i32_e32 v15, v2, v14
	v_mul_hi_u32 v16, v15, v12
	v_ashrrev_i32_e32 v18, 31, v2
	v_xor_b32_e32 v18, s55, v18
	v_mul_lo_u32 v17, v16, s52
	v_add_u32_e32 v19, 1, v16
	v_sub_u32_e32 v15, v15, v17
	v_cmp_le_u32_e32 vcc, s52, v15
	v_subrev_u32_e32 v17, s52, v15
	v_cndmask_b32_e32 v16, v16, v19, vcc
	v_cndmask_b32_e32 v15, v15, v17, vcc
	v_add_u32_e32 v17, 1, v16
	v_cmp_le_u32_e32 vcc, s52, v15
	v_cndmask_b32_e32 v15, v16, v17, vcc
	v_xor_b32_e32 v15, v15, v18
	v_sub_u32_e32 v15, v15, v18
	v_mul_lo_u32 v16, v15, s23
	v_sub_u32_e32 v2, v2, v16
	v_cmp_ne_u32_e32 vcc, 0, v2
	v_addc_co_u32_e32 v2, vcc, 0, v15, vcc
.LBB7_8:                                ;   in Loop: Header=BB7_4 Depth=1
	s_or_b64 exec, exec, s[2:3]
	v_add_u32_e32 v15, s42, v14
	v_cmp_lt_i32_e32 vcc, -2, v15
	v_mov_b32_e32 v14, s17
	s_and_saveexec_b64 s[2:3], vcc
	s_cbranch_execz .LBB7_10
; %bb.9:                                ;   in Loop: Header=BB7_4 Depth=1
	v_add_u32_e32 v14, 1, v15
	v_not_b32_e32 v15, v15
	v_max_i32_e32 v15, v14, v15
	v_mul_hi_u32 v16, v15, v12
	v_ashrrev_i32_e32 v18, 31, v14
	v_xor_b32_e32 v18, s55, v18
	v_mul_lo_u32 v17, v16, s52
	v_add_u32_e32 v19, 1, v16
	v_sub_u32_e32 v15, v15, v17
	v_cmp_le_u32_e32 vcc, s52, v15
	v_subrev_u32_e32 v17, s52, v15
	v_cndmask_b32_e32 v16, v16, v19, vcc
	v_cndmask_b32_e32 v15, v15, v17, vcc
	v_add_u32_e32 v17, 1, v16
	v_cmp_le_u32_e32 vcc, s52, v15
	v_cndmask_b32_e32 v15, v16, v17, vcc
	v_xor_b32_e32 v15, v15, v18
	v_sub_u32_e32 v15, v15, v18
	v_mul_lo_u32 v16, v15, s23
	v_mov_b32_e32 v17, s17
	v_sub_u32_e32 v14, v14, v16
	v_cmp_ne_u32_e32 vcc, 0, v14
	v_subb_co_u32_e32 v14, vcc, v17, v15, vcc
.LBB7_10:                               ;   in Loop: Header=BB7_4 Depth=1
	s_or_b64 exec, exec, s[2:3]
	v_mul_lo_u32 v6, v6, s14
	v_sub_u32_e32 v6, v0, v6
	v_mul_lo_u32 v17, v6, s18
	v_mov_b32_e32 v6, 0
	v_subrev_u32_e32 v15, s20, v17
	v_cmp_gt_i32_e32 vcc, 0, v15
	s_and_saveexec_b64 s[2:3], vcc
	s_cbranch_execz .LBB7_12
; %bb.11:                               ;   in Loop: Header=BB7_4 Depth=1
	v_sub_u32_e32 v6, 0, v15
	v_max_i32_e32 v16, v6, v15
	v_mul_hi_u32 v18, v16, v13
	v_ashrrev_i32_e32 v20, 31, v6
	v_xor_b32_e32 v20, s56, v20
	v_mul_lo_u32 v19, v18, s53
	v_add_u32_e32 v21, 1, v18
	v_sub_u32_e32 v16, v16, v19
	v_cmp_le_u32_e32 vcc, s53, v16
	v_subrev_u32_e32 v19, s53, v16
	v_cndmask_b32_e32 v18, v18, v21, vcc
	v_cndmask_b32_e32 v16, v16, v19, vcc
	v_add_u32_e32 v19, 1, v18
	v_cmp_le_u32_e32 vcc, s53, v16
	v_cndmask_b32_e32 v16, v18, v19, vcc
	v_xor_b32_e32 v16, v16, v20
	v_sub_u32_e32 v16, v16, v20
	v_mul_lo_u32 v18, v16, s22
	v_sub_u32_e32 v6, v6, v18
	v_cmp_ne_u32_e32 vcc, 0, v6
	v_addc_co_u32_e32 v6, vcc, 0, v16, vcc
.LBB7_12:                               ;   in Loop: Header=BB7_4 Depth=1
	s_or_b64 exec, exec, s[2:3]
	v_add_u32_e32 v16, s44, v15
	v_cmp_lt_i32_e32 vcc, -2, v16
	v_mov_b32_e32 v15, s16
	s_and_saveexec_b64 s[2:3], vcc
	s_cbranch_execnz .LBB7_15
; %bb.13:                               ;   in Loop: Header=BB7_4 Depth=1
	s_or_b64 exec, exec, s[2:3]
	s_andn2_b64 vcc, exec, s[8:9]
	v_mov_b32_e32 v16, 0
	s_cbranch_vccz .LBB7_16
.LBB7_14:                               ;   in Loop: Header=BB7_4 Depth=1
	v_cmp_lt_i32_e32 vcc, v2, v14
	s_and_saveexec_b64 s[34:35], vcc
	s_cbranch_execz .LBB7_3
	s_branch .LBB7_17
.LBB7_15:                               ;   in Loop: Header=BB7_4 Depth=1
	v_add_u32_e32 v15, 1, v16
	v_not_b32_e32 v16, v16
	v_max_i32_e32 v16, v15, v16
	v_mul_hi_u32 v18, v16, v13
	v_ashrrev_i32_e32 v20, 31, v15
	v_xor_b32_e32 v20, s56, v20
	v_mul_lo_u32 v19, v18, s53
	v_add_u32_e32 v21, 1, v18
	v_sub_u32_e32 v16, v16, v19
	v_cmp_le_u32_e32 vcc, s53, v16
	v_subrev_u32_e32 v19, s53, v16
	v_cndmask_b32_e32 v18, v18, v21, vcc
	v_cndmask_b32_e32 v16, v16, v19, vcc
	v_add_u32_e32 v19, 1, v18
	v_cmp_le_u32_e32 vcc, s53, v16
	v_cndmask_b32_e32 v16, v18, v19, vcc
	v_xor_b32_e32 v16, v16, v20
	v_sub_u32_e32 v16, v16, v20
	v_mul_lo_u32 v18, v16, s22
	v_mov_b32_e32 v19, s16
	v_sub_u32_e32 v15, v15, v18
	v_cmp_ne_u32_e32 vcc, 0, v15
	v_subb_co_u32_e32 v15, vcc, v19, v16, vcc
	s_or_b64 exec, exec, s[2:3]
	s_andn2_b64 vcc, exec, s[8:9]
	v_mov_b32_e32 v16, 0
	s_cbranch_vccnz .LBB7_14
.LBB7_16:                               ;   in Loop: Header=BB7_4 Depth=1
	v_lshlrev_b64 v[18:19], 2, v[3:4]
	v_mov_b32_e32 v4, s31
	v_add_co_u32_e32 v18, vcc, s30, v18
	v_addc_co_u32_e32 v19, vcc, v4, v19, vcc
	global_load_dword v16, v[18:19], off
	v_cmp_lt_i32_e32 vcc, v2, v14
	s_and_saveexec_b64 s[34:35], vcc
	s_cbranch_execz .LBB7_3
.LBB7_17:                               ;   in Loop: Header=BB7_4 Depth=1
	v_mad_u64_u32 v[4:5], s[2:3], s36, v7, v[5:6]
	v_mul_lo_u32 v5, s23, v2
	v_mul_lo_u32 v18, s22, v6
	;; [unrolled: 1-line block ×3, first 2 shown]
	v_mad_u64_u32 v[3:4], s[2:3], v3, s17, v[2:3]
	v_add_u32_e32 v4, s58, v5
	v_add3_u32 v4, v4, v8, v7
	v_mul_lo_u32 v5, s12, v4
	v_mad_u64_u32 v[3:4], s[2:3], s16, v3, v[6:7]
	v_add_u32_e32 v4, s57, v18
	v_cmp_lt_i32_e32 vcc, v6, v15
	v_add3_u32 v17, v4, v5, v17
	s_mov_b64 s[36:37], 0
	s_branch .LBB7_19
.LBB7_18:                               ;   in Loop: Header=BB7_19 Depth=2
	s_or_b64 exec, exec, s[38:39]
	v_add_u32_e32 v2, 1, v2
	v_cmp_ge_i32_e64 s[2:3], v2, v14
	v_add_u32_e32 v3, s16, v3
	s_or_b64 s[36:37], s[2:3], s[36:37]
	v_add_u32_e32 v17, s59, v17
	s_andn2_b64 exec, exec, s[36:37]
	s_cbranch_execz .LBB7_2
.LBB7_19:                               ;   Parent Loop BB7_4 Depth=1
                                        ; =>  This Loop Header: Depth=2
                                        ;       Child Loop BB7_21 Depth 3
	s_and_saveexec_b64 s[38:39], vcc
	s_cbranch_execz .LBB7_18
; %bb.20:                               ;   in Loop: Header=BB7_19 Depth=2
	v_ashrrev_i32_e32 v4, 31, v3
	v_lshlrev_b64 v[4:5], 2, v[3:4]
	v_mov_b32_e32 v7, s29
	v_add_co_u32_e64 v4, s[2:3], s28, v4
	v_addc_co_u32_e64 v5, s[2:3], v7, v5, s[2:3]
	s_mov_b64 s[40:41], 0
	v_mov_b32_e32 v7, v17
	v_mov_b32_e32 v18, v6
.LBB7_21:                               ;   Parent Loop BB7_4 Depth=1
                                        ;     Parent Loop BB7_19 Depth=2
                                        ; =>    This Inner Loop Header: Depth=3
	v_ashrrev_i32_e32 v8, 31, v7
	v_lshlrev_b64 v[19:20], 2, v[7:8]
	v_mov_b32_e32 v22, s25
	v_add_co_u32_e64 v19, s[2:3], s24, v19
	v_addc_co_u32_e64 v20, s[2:3], v22, v20, s[2:3]
	global_load_dword v21, v[4:5], off
	global_load_dword v8, v[19:20], off
	v_add_co_u32_e64 v4, s[2:3], 4, v4
	v_add_u32_e32 v18, 1, v18
	v_addc_co_u32_e64 v5, s[2:3], 0, v5, s[2:3]
	v_cmp_ge_i32_e64 s[2:3], v18, v15
	v_add_u32_e32 v7, s22, v7
	s_or_b64 s[40:41], s[2:3], s[40:41]
	s_waitcnt vmcnt(0)
	v_fmac_f32_e32 v16, v21, v8
	s_andn2_b64 exec, exec, s[40:41]
	s_cbranch_execnz .LBB7_21
; %bb.22:                               ;   in Loop: Header=BB7_19 Depth=2
	s_or_b64 exec, exec, s[40:41]
	s_branch .LBB7_18
.LBB7_23:
	s_endpgm
	.section	.rodata,"a",@progbits
	.p2align	6, 0x0
	.amdhsa_kernel _ZN2at6native12_GLOBAL__N_139conv_depthwise2d_forward_kernel_genericIfiEEvN5torch10headeronly6detail27GenericPackedTensorAccessorINS5_14TensorAccessorIN3c108ArrayRefIlEEKT_Lm3ENS4_16DefaultPtrTraitsEiEENS_6detail16IndexBoundsCheckILm4EiEESC_Lm4ESD_iEENS6_INS7_ISA_SB_Lm3ESD_iEESH_SB_Lm4ESD_iEESI_NS6_INS7_ISA_SC_Lm0ESD_iEENSG_ILm1EiEESC_Lm1ESD_iEEbT0_iiiiiiiiiiiiii
		.amdhsa_group_segment_fixed_size 0
		.amdhsa_private_segment_fixed_size 0
		.amdhsa_kernarg_size 456
		.amdhsa_user_sgpr_count 6
		.amdhsa_user_sgpr_private_segment_buffer 1
		.amdhsa_user_sgpr_dispatch_ptr 0
		.amdhsa_user_sgpr_queue_ptr 0
		.amdhsa_user_sgpr_kernarg_segment_ptr 1
		.amdhsa_user_sgpr_dispatch_id 0
		.amdhsa_user_sgpr_flat_scratch_init 0
		.amdhsa_user_sgpr_private_segment_size 0
		.amdhsa_uses_dynamic_stack 0
		.amdhsa_system_sgpr_private_segment_wavefront_offset 0
		.amdhsa_system_sgpr_workgroup_id_x 1
		.amdhsa_system_sgpr_workgroup_id_y 0
		.amdhsa_system_sgpr_workgroup_id_z 0
		.amdhsa_system_sgpr_workgroup_info 0
		.amdhsa_system_vgpr_workitem_id 0
		.amdhsa_next_free_vgpr 23
		.amdhsa_next_free_sgpr 60
		.amdhsa_reserve_vcc 1
		.amdhsa_reserve_flat_scratch 0
		.amdhsa_float_round_mode_32 0
		.amdhsa_float_round_mode_16_64 0
		.amdhsa_float_denorm_mode_32 3
		.amdhsa_float_denorm_mode_16_64 3
		.amdhsa_dx10_clamp 1
		.amdhsa_ieee_mode 1
		.amdhsa_fp16_overflow 0
		.amdhsa_exception_fp_ieee_invalid_op 0
		.amdhsa_exception_fp_denorm_src 0
		.amdhsa_exception_fp_ieee_div_zero 0
		.amdhsa_exception_fp_ieee_overflow 0
		.amdhsa_exception_fp_ieee_underflow 0
		.amdhsa_exception_fp_ieee_inexact 0
		.amdhsa_exception_int_div_zero 0
	.end_amdhsa_kernel
	.section	.text._ZN2at6native12_GLOBAL__N_139conv_depthwise2d_forward_kernel_genericIfiEEvN5torch10headeronly6detail27GenericPackedTensorAccessorINS5_14TensorAccessorIN3c108ArrayRefIlEEKT_Lm3ENS4_16DefaultPtrTraitsEiEENS_6detail16IndexBoundsCheckILm4EiEESC_Lm4ESD_iEENS6_INS7_ISA_SB_Lm3ESD_iEESH_SB_Lm4ESD_iEESI_NS6_INS7_ISA_SC_Lm0ESD_iEENSG_ILm1EiEESC_Lm1ESD_iEEbT0_iiiiiiiiiiiiii,"axG",@progbits,_ZN2at6native12_GLOBAL__N_139conv_depthwise2d_forward_kernel_genericIfiEEvN5torch10headeronly6detail27GenericPackedTensorAccessorINS5_14TensorAccessorIN3c108ArrayRefIlEEKT_Lm3ENS4_16DefaultPtrTraitsEiEENS_6detail16IndexBoundsCheckILm4EiEESC_Lm4ESD_iEENS6_INS7_ISA_SB_Lm3ESD_iEESH_SB_Lm4ESD_iEESI_NS6_INS7_ISA_SC_Lm0ESD_iEENSG_ILm1EiEESC_Lm1ESD_iEEbT0_iiiiiiiiiiiiii,comdat
.Lfunc_end7:
	.size	_ZN2at6native12_GLOBAL__N_139conv_depthwise2d_forward_kernel_genericIfiEEvN5torch10headeronly6detail27GenericPackedTensorAccessorINS5_14TensorAccessorIN3c108ArrayRefIlEEKT_Lm3ENS4_16DefaultPtrTraitsEiEENS_6detail16IndexBoundsCheckILm4EiEESC_Lm4ESD_iEENS6_INS7_ISA_SB_Lm3ESD_iEESH_SB_Lm4ESD_iEESI_NS6_INS7_ISA_SC_Lm0ESD_iEENSG_ILm1EiEESC_Lm1ESD_iEEbT0_iiiiiiiiiiiiii, .Lfunc_end7-_ZN2at6native12_GLOBAL__N_139conv_depthwise2d_forward_kernel_genericIfiEEvN5torch10headeronly6detail27GenericPackedTensorAccessorINS5_14TensorAccessorIN3c108ArrayRefIlEEKT_Lm3ENS4_16DefaultPtrTraitsEiEENS_6detail16IndexBoundsCheckILm4EiEESC_Lm4ESD_iEENS6_INS7_ISA_SB_Lm3ESD_iEESH_SB_Lm4ESD_iEESI_NS6_INS7_ISA_SC_Lm0ESD_iEENSG_ILm1EiEESC_Lm1ESD_iEEbT0_iiiiiiiiiiiiii
                                        ; -- End function
	.set _ZN2at6native12_GLOBAL__N_139conv_depthwise2d_forward_kernel_genericIfiEEvN5torch10headeronly6detail27GenericPackedTensorAccessorINS5_14TensorAccessorIN3c108ArrayRefIlEEKT_Lm3ENS4_16DefaultPtrTraitsEiEENS_6detail16IndexBoundsCheckILm4EiEESC_Lm4ESD_iEENS6_INS7_ISA_SB_Lm3ESD_iEESH_SB_Lm4ESD_iEESI_NS6_INS7_ISA_SC_Lm0ESD_iEENSG_ILm1EiEESC_Lm1ESD_iEEbT0_iiiiiiiiiiiiii.num_vgpr, 23
	.set _ZN2at6native12_GLOBAL__N_139conv_depthwise2d_forward_kernel_genericIfiEEvN5torch10headeronly6detail27GenericPackedTensorAccessorINS5_14TensorAccessorIN3c108ArrayRefIlEEKT_Lm3ENS4_16DefaultPtrTraitsEiEENS_6detail16IndexBoundsCheckILm4EiEESC_Lm4ESD_iEENS6_INS7_ISA_SB_Lm3ESD_iEESH_SB_Lm4ESD_iEESI_NS6_INS7_ISA_SC_Lm0ESD_iEENSG_ILm1EiEESC_Lm1ESD_iEEbT0_iiiiiiiiiiiiii.num_agpr, 0
	.set _ZN2at6native12_GLOBAL__N_139conv_depthwise2d_forward_kernel_genericIfiEEvN5torch10headeronly6detail27GenericPackedTensorAccessorINS5_14TensorAccessorIN3c108ArrayRefIlEEKT_Lm3ENS4_16DefaultPtrTraitsEiEENS_6detail16IndexBoundsCheckILm4EiEESC_Lm4ESD_iEENS6_INS7_ISA_SB_Lm3ESD_iEESH_SB_Lm4ESD_iEESI_NS6_INS7_ISA_SC_Lm0ESD_iEENSG_ILm1EiEESC_Lm1ESD_iEEbT0_iiiiiiiiiiiiii.numbered_sgpr, 60
	.set _ZN2at6native12_GLOBAL__N_139conv_depthwise2d_forward_kernel_genericIfiEEvN5torch10headeronly6detail27GenericPackedTensorAccessorINS5_14TensorAccessorIN3c108ArrayRefIlEEKT_Lm3ENS4_16DefaultPtrTraitsEiEENS_6detail16IndexBoundsCheckILm4EiEESC_Lm4ESD_iEENS6_INS7_ISA_SB_Lm3ESD_iEESH_SB_Lm4ESD_iEESI_NS6_INS7_ISA_SC_Lm0ESD_iEENSG_ILm1EiEESC_Lm1ESD_iEEbT0_iiiiiiiiiiiiii.num_named_barrier, 0
	.set _ZN2at6native12_GLOBAL__N_139conv_depthwise2d_forward_kernel_genericIfiEEvN5torch10headeronly6detail27GenericPackedTensorAccessorINS5_14TensorAccessorIN3c108ArrayRefIlEEKT_Lm3ENS4_16DefaultPtrTraitsEiEENS_6detail16IndexBoundsCheckILm4EiEESC_Lm4ESD_iEENS6_INS7_ISA_SB_Lm3ESD_iEESH_SB_Lm4ESD_iEESI_NS6_INS7_ISA_SC_Lm0ESD_iEENSG_ILm1EiEESC_Lm1ESD_iEEbT0_iiiiiiiiiiiiii.private_seg_size, 0
	.set _ZN2at6native12_GLOBAL__N_139conv_depthwise2d_forward_kernel_genericIfiEEvN5torch10headeronly6detail27GenericPackedTensorAccessorINS5_14TensorAccessorIN3c108ArrayRefIlEEKT_Lm3ENS4_16DefaultPtrTraitsEiEENS_6detail16IndexBoundsCheckILm4EiEESC_Lm4ESD_iEENS6_INS7_ISA_SB_Lm3ESD_iEESH_SB_Lm4ESD_iEESI_NS6_INS7_ISA_SC_Lm0ESD_iEENSG_ILm1EiEESC_Lm1ESD_iEEbT0_iiiiiiiiiiiiii.uses_vcc, 1
	.set _ZN2at6native12_GLOBAL__N_139conv_depthwise2d_forward_kernel_genericIfiEEvN5torch10headeronly6detail27GenericPackedTensorAccessorINS5_14TensorAccessorIN3c108ArrayRefIlEEKT_Lm3ENS4_16DefaultPtrTraitsEiEENS_6detail16IndexBoundsCheckILm4EiEESC_Lm4ESD_iEENS6_INS7_ISA_SB_Lm3ESD_iEESH_SB_Lm4ESD_iEESI_NS6_INS7_ISA_SC_Lm0ESD_iEENSG_ILm1EiEESC_Lm1ESD_iEEbT0_iiiiiiiiiiiiii.uses_flat_scratch, 0
	.set _ZN2at6native12_GLOBAL__N_139conv_depthwise2d_forward_kernel_genericIfiEEvN5torch10headeronly6detail27GenericPackedTensorAccessorINS5_14TensorAccessorIN3c108ArrayRefIlEEKT_Lm3ENS4_16DefaultPtrTraitsEiEENS_6detail16IndexBoundsCheckILm4EiEESC_Lm4ESD_iEENS6_INS7_ISA_SB_Lm3ESD_iEESH_SB_Lm4ESD_iEESI_NS6_INS7_ISA_SC_Lm0ESD_iEENSG_ILm1EiEESC_Lm1ESD_iEEbT0_iiiiiiiiiiiiii.has_dyn_sized_stack, 0
	.set _ZN2at6native12_GLOBAL__N_139conv_depthwise2d_forward_kernel_genericIfiEEvN5torch10headeronly6detail27GenericPackedTensorAccessorINS5_14TensorAccessorIN3c108ArrayRefIlEEKT_Lm3ENS4_16DefaultPtrTraitsEiEENS_6detail16IndexBoundsCheckILm4EiEESC_Lm4ESD_iEENS6_INS7_ISA_SB_Lm3ESD_iEESH_SB_Lm4ESD_iEESI_NS6_INS7_ISA_SC_Lm0ESD_iEENSG_ILm1EiEESC_Lm1ESD_iEEbT0_iiiiiiiiiiiiii.has_recursion, 0
	.set _ZN2at6native12_GLOBAL__N_139conv_depthwise2d_forward_kernel_genericIfiEEvN5torch10headeronly6detail27GenericPackedTensorAccessorINS5_14TensorAccessorIN3c108ArrayRefIlEEKT_Lm3ENS4_16DefaultPtrTraitsEiEENS_6detail16IndexBoundsCheckILm4EiEESC_Lm4ESD_iEENS6_INS7_ISA_SB_Lm3ESD_iEESH_SB_Lm4ESD_iEESI_NS6_INS7_ISA_SC_Lm0ESD_iEENSG_ILm1EiEESC_Lm1ESD_iEEbT0_iiiiiiiiiiiiii.has_indirect_call, 0
	.section	.AMDGPU.csdata,"",@progbits
; Kernel info:
; codeLenInByte = 1884
; TotalNumSgprs: 64
; NumVgprs: 23
; ScratchSize: 0
; MemoryBound: 0
; FloatMode: 240
; IeeeMode: 1
; LDSByteSize: 0 bytes/workgroup (compile time only)
; SGPRBlocks: 7
; VGPRBlocks: 5
; NumSGPRsForWavesPerEU: 64
; NumVGPRsForWavesPerEU: 23
; Occupancy: 10
; WaveLimiterHint : 0
; COMPUTE_PGM_RSRC2:SCRATCH_EN: 0
; COMPUTE_PGM_RSRC2:USER_SGPR: 6
; COMPUTE_PGM_RSRC2:TRAP_HANDLER: 0
; COMPUTE_PGM_RSRC2:TGID_X_EN: 1
; COMPUTE_PGM_RSRC2:TGID_Y_EN: 0
; COMPUTE_PGM_RSRC2:TGID_Z_EN: 0
; COMPUTE_PGM_RSRC2:TIDIG_COMP_CNT: 0
	.section	.text._ZN2at6native12_GLOBAL__N_131conv_depthwise2d_forward_kernelILi5EN3c104HalfEiEEvN5torch10headeronly6detail27GenericPackedTensorAccessorINS7_14TensorAccessorINS3_8ArrayRefIlEEKT0_Lm3ENS6_16DefaultPtrTraitsEiEENS_6detail16IndexBoundsCheckILm4EiEESD_Lm4ESE_iEENS8_INS9_ISB_SC_Lm3ESE_iEESI_SC_Lm4ESE_iEESJ_NS8_INS9_ISB_SD_Lm0ESE_iEENSH_ILm1EiEESD_Lm1ESE_iEEbT1_iiiiiiiiiiiiii,"axG",@progbits,_ZN2at6native12_GLOBAL__N_131conv_depthwise2d_forward_kernelILi5EN3c104HalfEiEEvN5torch10headeronly6detail27GenericPackedTensorAccessorINS7_14TensorAccessorINS3_8ArrayRefIlEEKT0_Lm3ENS6_16DefaultPtrTraitsEiEENS_6detail16IndexBoundsCheckILm4EiEESD_Lm4ESE_iEENS8_INS9_ISB_SC_Lm3ESE_iEESI_SC_Lm4ESE_iEESJ_NS8_INS9_ISB_SD_Lm0ESE_iEENSH_ILm1EiEESD_Lm1ESE_iEEbT1_iiiiiiiiiiiiii,comdat
	.globl	_ZN2at6native12_GLOBAL__N_131conv_depthwise2d_forward_kernelILi5EN3c104HalfEiEEvN5torch10headeronly6detail27GenericPackedTensorAccessorINS7_14TensorAccessorINS3_8ArrayRefIlEEKT0_Lm3ENS6_16DefaultPtrTraitsEiEENS_6detail16IndexBoundsCheckILm4EiEESD_Lm4ESE_iEENS8_INS9_ISB_SC_Lm3ESE_iEESI_SC_Lm4ESE_iEESJ_NS8_INS9_ISB_SD_Lm0ESE_iEENSH_ILm1EiEESD_Lm1ESE_iEEbT1_iiiiiiiiiiiiii ; -- Begin function _ZN2at6native12_GLOBAL__N_131conv_depthwise2d_forward_kernelILi5EN3c104HalfEiEEvN5torch10headeronly6detail27GenericPackedTensorAccessorINS7_14TensorAccessorINS3_8ArrayRefIlEEKT0_Lm3ENS6_16DefaultPtrTraitsEiEENS_6detail16IndexBoundsCheckILm4EiEESD_Lm4ESE_iEENS8_INS9_ISB_SC_Lm3ESE_iEESI_SC_Lm4ESE_iEESJ_NS8_INS9_ISB_SD_Lm0ESE_iEENSH_ILm1EiEESD_Lm1ESE_iEEbT1_iiiiiiiiiiiiii
	.p2align	8
	.type	_ZN2at6native12_GLOBAL__N_131conv_depthwise2d_forward_kernelILi5EN3c104HalfEiEEvN5torch10headeronly6detail27GenericPackedTensorAccessorINS7_14TensorAccessorINS3_8ArrayRefIlEEKT0_Lm3ENS6_16DefaultPtrTraitsEiEENS_6detail16IndexBoundsCheckILm4EiEESD_Lm4ESE_iEENS8_INS9_ISB_SC_Lm3ESE_iEESI_SC_Lm4ESE_iEESJ_NS8_INS9_ISB_SD_Lm0ESE_iEENSH_ILm1EiEESD_Lm1ESE_iEEbT1_iiiiiiiiiiiiii,@function
_ZN2at6native12_GLOBAL__N_131conv_depthwise2d_forward_kernelILi5EN3c104HalfEiEEvN5torch10headeronly6detail27GenericPackedTensorAccessorINS7_14TensorAccessorINS3_8ArrayRefIlEEKT0_Lm3ENS6_16DefaultPtrTraitsEiEENS_6detail16IndexBoundsCheckILm4EiEESD_Lm4ESE_iEENS8_INS9_ISB_SC_Lm3ESE_iEESI_SC_Lm4ESE_iEESJ_NS8_INS9_ISB_SD_Lm0ESE_iEENSH_ILm1EiEESD_Lm1ESE_iEEbT1_iiiiiiiiiiiiii: ; @_ZN2at6native12_GLOBAL__N_131conv_depthwise2d_forward_kernelILi5EN3c104HalfEiEEvN5torch10headeronly6detail27GenericPackedTensorAccessorINS7_14TensorAccessorINS3_8ArrayRefIlEEKT0_Lm3ENS6_16DefaultPtrTraitsEiEENS_6detail16IndexBoundsCheckILm4EiEESD_Lm4ESE_iEENS8_INS9_ISB_SC_Lm3ESE_iEESI_SC_Lm4ESE_iEESJ_NS8_INS9_ISB_SD_Lm0ESE_iEENSH_ILm1EiEESD_Lm1ESE_iEEbT1_iiiiiiiiiiiiii
; %bb.0:
	s_load_dword s0, s[4:5], 0xd4
	s_load_dwordx16 s[8:23], s[4:5], 0x88
	s_add_u32 s2, s4, 0xc8
	s_addc_u32 s3, s5, 0
	v_mov_b32_e32 v7, 0
	s_waitcnt lgkmcnt(0)
	s_and_b32 s7, s0, 0xffff
	s_mul_hi_u32 s33, s7, s6
	s_mul_i32 s40, s7, s6
	v_mov_b32_e32 v2, s33
	v_add_co_u32_e32 v1, vcc, s40, v0
	v_addc_co_u32_e32 v2, vcc, 0, v2, vcc
	s_ashr_i32 s25, s9, 31
	s_mov_b32 s24, s9
	v_cmp_gt_i64_e32 vcc, s[24:25], v[1:2]
	s_and_saveexec_b64 s[0:1], vcc
	s_cbranch_execz .LBB8_107
; %bb.1:
	s_bitcmp1_b32 s8, 0
	s_cselect_b64 s[8:9], -1, 0
	s_cmp_lg_u32 s11, 1
	s_cselect_b64 s[0:1], -1, 0
	s_abs_i32 s41, s14
	v_cvt_f32_u32_e32 v3, s41
	s_abs_i32 s43, s15
	v_cvt_f32_u32_e32 v4, s43
	s_load_dwordx2 s[26:27], s[4:5], 0x0
	s_load_dwordx2 s[34:35], s[4:5], 0x28
	;; [unrolled: 1-line block ×4, first 2 shown]
	s_load_dword s6, s[2:3], 0x0
	v_rcp_iflag_f32_e32 v3, v3
	s_sub_i32 s2, 0, s41
	v_rcp_iflag_f32_e32 v4, v4
	s_abs_i32 s44, s10
	v_mul_f32_e32 v3, 0x4f7ffffe, v3
	v_cvt_u32_f32_e32 v3, v3
	v_cvt_f32_u32_e32 v6, s44
	v_mul_f32_e32 v4, 0x4f7ffffe, v4
	v_cvt_u32_f32_e32 v4, v4
	v_mul_lo_u32 v5, s2, v3
	v_rcp_iflag_f32_e32 v6, v6
	s_sub_i32 s2, 0, s43
	s_abs_i32 s46, s11
	v_mul_hi_u32 v5, v3, v5
	v_mul_lo_u32 v9, s2, v4
	s_sub_i32 s2, 0, s44
	s_ashr_i32 s48, s10, 31
	v_add_u32_e32 v8, v3, v5
	v_mul_f32_e32 v5, 0x4f7ffffe, v6
	v_cvt_f32_u32_e32 v6, s46
	v_mul_hi_u32 v3, v4, v9
	v_cvt_u32_f32_e32 v5, v5
	s_ashr_i32 s11, s11, 31
	v_rcp_iflag_f32_e32 v6, v6
	v_add_u32_e32 v9, v4, v3
	v_mul_lo_u32 v10, s2, v5
	s_sub_i32 s2, 0, s46
	v_mul_f32_e32 v4, 0x4f7ffffe, v6
	v_cvt_u32_f32_e32 v4, v4
	s_mul_i32 s42, s17, s16
	s_waitcnt lgkmcnt(0)
	s_mul_i32 s16, s6, s7
	s_ashr_i32 s45, s14, 31
	v_readfirstlane_b32 s3, v4
	s_mul_i32 s2, s2, s3
	s_mul_hi_u32 s2, s3, s2
	s_add_i32 s49, s3, s2
	s_mul_hi_u32 s3, s44, s49
	s_mul_i32 s4, s3, s46
	s_sub_i32 s4, s44, s4
	s_ashr_i32 s47, s15, 31
	s_xor_b32 s2, s48, s11
	s_add_i32 s5, s3, 1
	s_sub_i32 s6, s4, s46
	v_mul_hi_u32 v3, v5, v10
	s_cmp_ge_u32 s4, s46
	s_cselect_b32 s3, s5, s3
	s_cselect_b32 s4, s6, s4
	s_add_i32 s5, s3, 1
	v_lshlrev_b64 v[1:2], 1, v[1:2]
	s_cmp_ge_u32 s4, s46
	v_add_u32_e32 v10, v5, v3
	s_cselect_b32 s3, s5, s3
	v_mov_b32_e32 v3, s35
	v_add_co_u32_e32 v1, vcc, s34, v1
	s_mov_b32 s17, 0
	s_xor_b32 s3, s3, s2
	v_addc_co_u32_e32 v2, vcc, v3, v2, vcc
	v_cndmask_b32_e64 v3, 0, 1, s[0:1]
	s_sub_i32 s50, s3, s2
	s_lshl_b64 s[34:35], s[16:17], 1
	s_sub_i32 s14, 0, s14
	s_mov_b64 s[36:37], 0
	v_cmp_ne_u32_e64 s[0:1], 1, v3
	s_branch .LBB8_4
.LBB8_2:                                ;   in Loop: Header=BB8_4 Depth=1
	s_or_b64 exec, exec, s[2:3]
.LBB8_3:                                ;   in Loop: Header=BB8_4 Depth=1
	s_or_b64 exec, exec, s[6:7]
	v_cvt_f16_f32_e32 v3, v11
	v_add_co_u32_e32 v0, vcc, s16, v0
	v_addc_co_u32_e32 v7, vcc, 0, v7, vcc
	global_store_short v[1:2], v3, off
	v_mov_b32_e32 v4, s33
	v_add_co_u32_e32 v3, vcc, s40, v0
	v_addc_co_u32_e32 v4, vcc, v4, v7, vcc
	v_cmp_le_i64_e32 vcc, s[24:25], v[3:4]
	v_mov_b32_e32 v3, s35
	s_or_b64 s[36:37], vcc, s[36:37]
	v_add_co_u32_e32 v1, vcc, s34, v1
	v_addc_co_u32_e32 v2, vcc, v2, v3, vcc
	s_andn2_b64 exec, exec, s[36:37]
	s_cbranch_execz .LBB8_107
.LBB8_4:                                ; =>This Inner Loop Header: Depth=1
	v_add_co_u32_e32 v3, vcc, s40, v0
	v_sub_u32_e32 v4, 0, v3
	v_max_i32_e32 v4, v3, v4
	v_mul_hi_u32 v5, v4, v8
	v_ashrrev_i32_e32 v11, 31, v3
	v_xor_b32_e32 v11, s45, v11
	s_mov_b32 s2, s10
	v_mul_lo_u32 v6, v5, s41
	v_add_u32_e32 v12, 1, v5
	v_sub_u32_e32 v4, v4, v6
	v_cmp_le_u32_e32 vcc, s41, v4
	v_subrev_u32_e32 v6, s41, v4
	v_cndmask_b32_e32 v5, v5, v12, vcc
	v_cndmask_b32_e32 v4, v4, v6, vcc
	v_add_u32_e32 v6, 1, v5
	v_cmp_le_u32_e32 vcc, s41, v4
	v_cndmask_b32_e32 v4, v5, v6, vcc
	v_xor_b32_e32 v4, v4, v11
	v_sub_u32_e32 v12, v4, v11
	v_sub_u32_e32 v4, 0, v12
	v_max_i32_e32 v4, v12, v4
	v_mul_hi_u32 v5, v4, v9
	v_ashrrev_i32_e32 v11, 31, v12
	v_xor_b32_e32 v11, s47, v11
	v_mul_lo_u32 v6, v5, s43
	v_add_u32_e32 v13, 1, v5
	v_sub_u32_e32 v4, v4, v6
	v_cmp_le_u32_e32 vcc, s43, v4
	v_subrev_u32_e32 v6, s43, v4
	v_cndmask_b32_e32 v5, v5, v13, vcc
	v_cndmask_b32_e32 v4, v4, v6, vcc
	v_add_u32_e32 v6, 1, v5
	v_cmp_le_u32_e32 vcc, s43, v4
	v_cndmask_b32_e32 v4, v5, v6, vcc
	v_xor_b32_e32 v4, v4, v11
	v_sub_u32_e32 v13, v4, v11
	v_sub_u32_e32 v4, 0, v13
	v_max_i32_e32 v4, v13, v4
	v_mul_hi_u32 v5, v4, v10
	v_ashrrev_i32_e32 v11, 31, v13
	v_xor_b32_e32 v11, s48, v11
	v_mul_lo_u32 v6, v5, s44
	v_add_u32_e32 v14, 1, v5
	v_sub_u32_e32 v4, v4, v6
	v_cmp_le_u32_e32 vcc, s44, v4
	v_subrev_u32_e32 v6, s44, v4
	v_cndmask_b32_e32 v5, v5, v14, vcc
	v_cndmask_b32_e32 v4, v4, v6, vcc
	v_add_u32_e32 v6, 1, v5
	v_cmp_le_u32_e32 vcc, s44, v4
	v_cndmask_b32_e32 v4, v5, v6, vcc
	v_xor_b32_e32 v4, v4, v11
	v_sub_u32_e32 v14, v4, v11
	v_mul_lo_u32 v4, v14, s10
	s_and_b64 vcc, exec, s[0:1]
	v_sub_u32_e32 v4, v13, v4
	v_ashrrev_i32_e32 v5, 31, v4
	v_mov_b32_e32 v6, v4
	s_cbranch_vccnz .LBB8_6
; %bb.5:                                ;   in Loop: Header=BB8_4 Depth=1
	v_sub_u32_e32 v6, 0, v4
	v_max_i32_e32 v6, v4, v6
	v_mul_hi_u32 v11, v6, s49
	v_xor_b32_e32 v16, s11, v5
	s_mov_b32 s2, s50
	v_mul_lo_u32 v15, v11, s46
	v_add_u32_e32 v17, 1, v11
	v_sub_u32_e32 v6, v6, v15
	v_cmp_le_u32_e32 vcc, s46, v6
	v_subrev_u32_e32 v15, s46, v6
	v_cndmask_b32_e32 v11, v11, v17, vcc
	v_cndmask_b32_e32 v6, v6, v15, vcc
	v_add_u32_e32 v15, 1, v11
	v_cmp_le_u32_e32 vcc, s46, v6
	v_cndmask_b32_e32 v6, v11, v15, vcc
	v_xor_b32_e32 v6, v6, v16
	v_sub_u32_e32 v6, v6, v16
.LBB8_6:                                ;   in Loop: Header=BB8_4 Depth=1
	s_andn2_b64 vcc, exec, s[8:9]
	v_mov_b32_e32 v11, 0
	s_cbranch_vccnz .LBB8_8
; %bb.7:                                ;   in Loop: Header=BB8_4 Depth=1
	v_lshlrev_b64 v[15:16], 1, v[4:5]
	v_mov_b32_e32 v5, s31
	v_add_co_u32_e32 v15, vcc, s30, v15
	v_addc_co_u32_e32 v16, vcc, v5, v16, vcc
	global_load_ushort v5, v[15:16], off
	s_waitcnt vmcnt(0)
	v_cvt_f32_f16_e32 v11, v5
.LBB8_8:                                ;   in Loop: Header=BB8_4 Depth=1
	v_mul_lo_u32 v15, v13, s15
	v_mad_u64_u32 v[5:6], s[2:3], s2, v14, v[6:7]
	v_mad_u64_u32 v[13:14], s[2:3], s14, v12, v[3:4]
	v_sub_u32_e32 v3, v12, v15
	v_mul_lo_u32 v6, v3, s19
	v_mul_lo_u32 v15, v5, s13
	v_mul_lo_u32 v3, s42, v4
	v_mul_lo_u32 v4, v13, s18
	v_subrev_u32_e32 v16, s21, v6
	v_add_u32_e32 v5, v16, v15
	v_mul_lo_u32 v17, v5, s12
	v_subrev_u32_e32 v5, s20, v4
	v_cmp_lt_i32_e64 s[2:3], -1, v16
	v_cmp_gt_i32_e32 vcc, s13, v16
	s_and_saveexec_b64 s[38:39], s[2:3]
	s_cbranch_execnz .LBB8_13
; %bb.9:                                ;   in Loop: Header=BB8_4 Depth=1
	s_or_b64 exec, exec, s[38:39]
	v_add_u32_e32 v6, s22, v5
	s_and_saveexec_b64 s[38:39], s[2:3]
	s_cbranch_execnz .LBB8_16
.LBB8_10:                               ;   in Loop: Header=BB8_4 Depth=1
	s_or_b64 exec, exec, s[38:39]
	v_add_u32_e32 v12, s22, v6
	s_and_saveexec_b64 s[38:39], s[2:3]
	s_cbranch_execnz .LBB8_19
.LBB8_11:                               ;   in Loop: Header=BB8_4 Depth=1
	s_or_b64 exec, exec, s[38:39]
	v_add_u32_e32 v13, s22, v12
	s_and_saveexec_b64 s[38:39], s[2:3]
	s_cbranch_execnz .LBB8_22
.LBB8_12:                               ;   in Loop: Header=BB8_4 Depth=1
	s_or_b64 exec, exec, s[38:39]
	v_add_u32_e32 v14, s22, v13
	s_and_saveexec_b64 s[6:7], s[2:3]
	s_cbranch_execnz .LBB8_25
	s_branch .LBB8_28
.LBB8_13:                               ;   in Loop: Header=BB8_4 Depth=1
	v_cmp_lt_i32_e64 s[4:5], -1, v5
	v_cmp_gt_i32_e64 s[6:7], s12, v5
	s_and_b64 s[4:5], s[4:5], s[6:7]
	s_and_b64 s[4:5], vcc, s[4:5]
	s_and_saveexec_b64 s[6:7], s[4:5]
	s_cbranch_execz .LBB8_15
; %bb.14:                               ;   in Loop: Header=BB8_4 Depth=1
	v_ashrrev_i32_e32 v4, 31, v3
	v_lshlrev_b64 v[13:14], 1, v[3:4]
	v_mov_b32_e32 v4, s29
	v_add_co_u32_e64 v13, s[4:5], s28, v13
	v_add_u32_e32 v12, v5, v17
	v_addc_co_u32_e64 v14, s[4:5], v4, v14, s[4:5]
	global_load_ushort v4, v[13:14], off
	v_ashrrev_i32_e32 v13, 31, v12
	v_lshlrev_b64 v[12:13], 1, v[12:13]
	v_mov_b32_e32 v6, s27
	v_add_co_u32_e64 v12, s[4:5], s26, v12
	v_addc_co_u32_e64 v13, s[4:5], v6, v13, s[4:5]
	global_load_ushort v6, v[12:13], off
	s_waitcnt vmcnt(0)
	v_fma_mix_f32 v11, v4, v6, v11 op_sel_hi:[1,1,0]
.LBB8_15:                               ;   in Loop: Header=BB8_4 Depth=1
	s_or_b64 exec, exec, s[6:7]
	s_or_b64 exec, exec, s[38:39]
	v_add_u32_e32 v6, s22, v5
	s_and_saveexec_b64 s[38:39], s[2:3]
	s_cbranch_execz .LBB8_10
.LBB8_16:                               ;   in Loop: Header=BB8_4 Depth=1
	v_cmp_lt_i32_e64 s[4:5], -1, v6
	v_cmp_gt_i32_e64 s[6:7], s12, v6
	s_and_b64 s[4:5], s[4:5], s[6:7]
	s_and_b64 s[4:5], vcc, s[4:5]
	s_and_saveexec_b64 s[6:7], s[4:5]
	s_cbranch_execz .LBB8_18
; %bb.17:                               ;   in Loop: Header=BB8_4 Depth=1
	v_ashrrev_i32_e32 v4, 31, v3
	v_lshlrev_b64 v[13:14], 1, v[3:4]
	v_mov_b32_e32 v4, s29
	v_add_co_u32_e64 v13, s[4:5], s28, v13
	v_add_u32_e32 v12, v6, v17
	v_addc_co_u32_e64 v14, s[4:5], v4, v14, s[4:5]
	global_load_ushort v4, v[13:14], off offset:2
	v_ashrrev_i32_e32 v13, 31, v12
	v_lshlrev_b64 v[12:13], 1, v[12:13]
	v_mov_b32_e32 v14, s27
	v_add_co_u32_e64 v12, s[4:5], s26, v12
	v_addc_co_u32_e64 v13, s[4:5], v14, v13, s[4:5]
	global_load_ushort v12, v[12:13], off
	s_waitcnt vmcnt(0)
	v_fma_mix_f32 v11, v4, v12, v11 op_sel_hi:[1,1,0]
.LBB8_18:                               ;   in Loop: Header=BB8_4 Depth=1
	s_or_b64 exec, exec, s[6:7]
	s_or_b64 exec, exec, s[38:39]
	v_add_u32_e32 v12, s22, v6
	s_and_saveexec_b64 s[38:39], s[2:3]
	s_cbranch_execz .LBB8_11
.LBB8_19:                               ;   in Loop: Header=BB8_4 Depth=1
	v_cmp_lt_i32_e64 s[4:5], -1, v12
	v_cmp_gt_i32_e64 s[6:7], s12, v12
	s_and_b64 s[4:5], s[4:5], s[6:7]
	s_and_b64 s[4:5], vcc, s[4:5]
	s_and_saveexec_b64 s[6:7], s[4:5]
	s_cbranch_execz .LBB8_21
; %bb.20:                               ;   in Loop: Header=BB8_4 Depth=1
	v_ashrrev_i32_e32 v4, 31, v3
	v_add_u32_e32 v13, v12, v17
	v_lshlrev_b64 v[18:19], 1, v[3:4]
	v_ashrrev_i32_e32 v14, 31, v13
	v_mov_b32_e32 v4, s29
	v_add_co_u32_e64 v18, s[4:5], s28, v18
	v_lshlrev_b64 v[13:14], 1, v[13:14]
	v_addc_co_u32_e64 v19, s[4:5], v4, v19, s[4:5]
	global_load_ushort v4, v[18:19], off offset:4
	v_mov_b32_e32 v18, s27
	v_add_co_u32_e64 v13, s[4:5], s26, v13
	v_addc_co_u32_e64 v14, s[4:5], v18, v14, s[4:5]
	global_load_ushort v13, v[13:14], off
	s_waitcnt vmcnt(0)
	v_fma_mix_f32 v11, v4, v13, v11 op_sel_hi:[1,1,0]
.LBB8_21:                               ;   in Loop: Header=BB8_4 Depth=1
	s_or_b64 exec, exec, s[6:7]
	s_or_b64 exec, exec, s[38:39]
	v_add_u32_e32 v13, s22, v12
	s_and_saveexec_b64 s[38:39], s[2:3]
	s_cbranch_execz .LBB8_12
.LBB8_22:                               ;   in Loop: Header=BB8_4 Depth=1
	v_cmp_lt_i32_e64 s[4:5], -1, v13
	v_cmp_gt_i32_e64 s[6:7], s12, v13
	s_and_b64 s[4:5], s[4:5], s[6:7]
	s_and_b64 s[4:5], vcc, s[4:5]
	s_and_saveexec_b64 s[6:7], s[4:5]
	s_cbranch_execz .LBB8_24
; %bb.23:                               ;   in Loop: Header=BB8_4 Depth=1
	v_ashrrev_i32_e32 v4, 31, v3
	v_lshlrev_b64 v[19:20], 1, v[3:4]
	v_mov_b32_e32 v4, s29
	v_add_co_u32_e64 v19, s[4:5], s28, v19
	v_add_u32_e32 v18, v13, v17
	v_addc_co_u32_e64 v20, s[4:5], v4, v20, s[4:5]
	global_load_ushort v4, v[19:20], off offset:6
	v_ashrrev_i32_e32 v19, 31, v18
	v_lshlrev_b64 v[18:19], 1, v[18:19]
	v_mov_b32_e32 v14, s27
	v_add_co_u32_e64 v18, s[4:5], s26, v18
	v_addc_co_u32_e64 v19, s[4:5], v14, v19, s[4:5]
	global_load_ushort v14, v[18:19], off
	s_waitcnt vmcnt(0)
	v_fma_mix_f32 v11, v4, v14, v11 op_sel_hi:[1,1,0]
.LBB8_24:                               ;   in Loop: Header=BB8_4 Depth=1
	s_or_b64 exec, exec, s[6:7]
	s_or_b64 exec, exec, s[38:39]
	v_add_u32_e32 v14, s22, v13
	s_and_saveexec_b64 s[6:7], s[2:3]
	s_cbranch_execz .LBB8_28
.LBB8_25:                               ;   in Loop: Header=BB8_4 Depth=1
	v_cmp_lt_i32_e64 s[2:3], -1, v14
	v_cmp_gt_i32_e64 s[4:5], s12, v14
	s_and_b64 s[2:3], s[2:3], s[4:5]
	s_and_b64 s[4:5], vcc, s[2:3]
	s_and_saveexec_b64 s[2:3], s[4:5]
	s_cbranch_execz .LBB8_27
; %bb.26:                               ;   in Loop: Header=BB8_4 Depth=1
	v_ashrrev_i32_e32 v4, 31, v3
	v_lshlrev_b64 v[18:19], 1, v[3:4]
	v_mov_b32_e32 v4, s29
	v_add_co_u32_e32 v18, vcc, s28, v18
	v_add_u32_e32 v17, v14, v17
	v_addc_co_u32_e32 v19, vcc, v4, v19, vcc
	global_load_ushort v4, v[18:19], off offset:8
	v_ashrrev_i32_e32 v18, 31, v17
	v_lshlrev_b64 v[17:18], 1, v[17:18]
	v_mov_b32_e32 v19, s27
	v_add_co_u32_e32 v17, vcc, s26, v17
	v_addc_co_u32_e32 v18, vcc, v19, v18, vcc
	global_load_ushort v17, v[17:18], off
	s_waitcnt vmcnt(0)
	v_fma_mix_f32 v11, v4, v17, v11 op_sel_hi:[1,1,0]
.LBB8_27:                               ;   in Loop: Header=BB8_4 Depth=1
	s_or_b64 exec, exec, s[2:3]
.LBB8_28:                               ;   in Loop: Header=BB8_4 Depth=1
	s_or_b64 exec, exec, s[6:7]
	v_add_u32_e32 v16, s23, v16
	v_add_u32_e32 v4, v16, v15
	v_mul_lo_u32 v17, v4, s12
	v_cmp_lt_i32_e64 s[2:3], -1, v16
	v_cmp_gt_i32_e32 vcc, s13, v16
	s_and_saveexec_b64 s[38:39], s[2:3]
	s_cbranch_execnz .LBB8_33
; %bb.29:                               ;   in Loop: Header=BB8_4 Depth=1
	s_or_b64 exec, exec, s[38:39]
	s_and_saveexec_b64 s[38:39], s[2:3]
	s_cbranch_execnz .LBB8_36
.LBB8_30:                               ;   in Loop: Header=BB8_4 Depth=1
	s_or_b64 exec, exec, s[38:39]
	s_and_saveexec_b64 s[38:39], s[2:3]
	s_cbranch_execnz .LBB8_39
.LBB8_31:                               ;   in Loop: Header=BB8_4 Depth=1
	s_or_b64 exec, exec, s[38:39]
	s_and_saveexec_b64 s[38:39], s[2:3]
	s_cbranch_execnz .LBB8_42
.LBB8_32:                               ;   in Loop: Header=BB8_4 Depth=1
	s_or_b64 exec, exec, s[38:39]
	s_and_saveexec_b64 s[6:7], s[2:3]
	s_cbranch_execnz .LBB8_45
	s_branch .LBB8_48
.LBB8_33:                               ;   in Loop: Header=BB8_4 Depth=1
	v_cmp_lt_i32_e64 s[4:5], -1, v5
	v_cmp_gt_i32_e64 s[6:7], s12, v5
	s_and_b64 s[4:5], s[4:5], s[6:7]
	s_and_b64 s[4:5], vcc, s[4:5]
	s_and_saveexec_b64 s[6:7], s[4:5]
	s_cbranch_execz .LBB8_35
; %bb.34:                               ;   in Loop: Header=BB8_4 Depth=1
	v_ashrrev_i32_e32 v4, 31, v3
	v_lshlrev_b64 v[19:20], 1, v[3:4]
	v_mov_b32_e32 v4, s29
	v_add_co_u32_e64 v19, s[4:5], s28, v19
	v_add_u32_e32 v18, v5, v17
	v_addc_co_u32_e64 v20, s[4:5], v4, v20, s[4:5]
	global_load_ushort v4, v[19:20], off offset:10
	v_ashrrev_i32_e32 v19, 31, v18
	v_lshlrev_b64 v[18:19], 1, v[18:19]
	v_mov_b32_e32 v20, s27
	v_add_co_u32_e64 v18, s[4:5], s26, v18
	v_addc_co_u32_e64 v19, s[4:5], v20, v19, s[4:5]
	global_load_ushort v18, v[18:19], off
	s_waitcnt vmcnt(0)
	v_fma_mix_f32 v11, v4, v18, v11 op_sel_hi:[1,1,0]
.LBB8_35:                               ;   in Loop: Header=BB8_4 Depth=1
	s_or_b64 exec, exec, s[6:7]
	s_or_b64 exec, exec, s[38:39]
	s_and_saveexec_b64 s[38:39], s[2:3]
	s_cbranch_execz .LBB8_30
.LBB8_36:                               ;   in Loop: Header=BB8_4 Depth=1
	v_cmp_lt_i32_e64 s[4:5], -1, v6
	v_cmp_gt_i32_e64 s[6:7], s12, v6
	s_and_b64 s[4:5], s[4:5], s[6:7]
	s_and_b64 s[4:5], vcc, s[4:5]
	s_and_saveexec_b64 s[6:7], s[4:5]
	s_cbranch_execz .LBB8_38
; %bb.37:                               ;   in Loop: Header=BB8_4 Depth=1
	v_ashrrev_i32_e32 v4, 31, v3
	v_lshlrev_b64 v[19:20], 1, v[3:4]
	v_mov_b32_e32 v4, s29
	v_add_co_u32_e64 v19, s[4:5], s28, v19
	v_add_u32_e32 v18, v6, v17
	v_addc_co_u32_e64 v20, s[4:5], v4, v20, s[4:5]
	global_load_ushort v4, v[19:20], off offset:12
	v_ashrrev_i32_e32 v19, 31, v18
	v_lshlrev_b64 v[18:19], 1, v[18:19]
	v_mov_b32_e32 v20, s27
	v_add_co_u32_e64 v18, s[4:5], s26, v18
	v_addc_co_u32_e64 v19, s[4:5], v20, v19, s[4:5]
	global_load_ushort v18, v[18:19], off
	s_waitcnt vmcnt(0)
	v_fma_mix_f32 v11, v4, v18, v11 op_sel_hi:[1,1,0]
.LBB8_38:                               ;   in Loop: Header=BB8_4 Depth=1
	s_or_b64 exec, exec, s[6:7]
	s_or_b64 exec, exec, s[38:39]
	s_and_saveexec_b64 s[38:39], s[2:3]
	s_cbranch_execz .LBB8_31
.LBB8_39:                               ;   in Loop: Header=BB8_4 Depth=1
	v_cmp_lt_i32_e64 s[4:5], -1, v12
	v_cmp_gt_i32_e64 s[6:7], s12, v12
	s_and_b64 s[4:5], s[4:5], s[6:7]
	s_and_b64 s[4:5], vcc, s[4:5]
	s_and_saveexec_b64 s[6:7], s[4:5]
	s_cbranch_execz .LBB8_41
; %bb.40:                               ;   in Loop: Header=BB8_4 Depth=1
	v_ashrrev_i32_e32 v4, 31, v3
	v_lshlrev_b64 v[19:20], 1, v[3:4]
	v_mov_b32_e32 v4, s29
	v_add_co_u32_e64 v19, s[4:5], s28, v19
	v_add_u32_e32 v18, v12, v17
	v_addc_co_u32_e64 v20, s[4:5], v4, v20, s[4:5]
	global_load_ushort v4, v[19:20], off offset:14
	v_ashrrev_i32_e32 v19, 31, v18
	v_lshlrev_b64 v[18:19], 1, v[18:19]
	v_mov_b32_e32 v20, s27
	v_add_co_u32_e64 v18, s[4:5], s26, v18
	v_addc_co_u32_e64 v19, s[4:5], v20, v19, s[4:5]
	global_load_ushort v18, v[18:19], off
	s_waitcnt vmcnt(0)
	v_fma_mix_f32 v11, v4, v18, v11 op_sel_hi:[1,1,0]
.LBB8_41:                               ;   in Loop: Header=BB8_4 Depth=1
	s_or_b64 exec, exec, s[6:7]
	s_or_b64 exec, exec, s[38:39]
	s_and_saveexec_b64 s[38:39], s[2:3]
	s_cbranch_execz .LBB8_32
.LBB8_42:                               ;   in Loop: Header=BB8_4 Depth=1
	v_cmp_lt_i32_e64 s[4:5], -1, v13
	v_cmp_gt_i32_e64 s[6:7], s12, v13
	s_and_b64 s[4:5], s[4:5], s[6:7]
	s_and_b64 s[4:5], vcc, s[4:5]
	s_and_saveexec_b64 s[6:7], s[4:5]
	s_cbranch_execz .LBB8_44
; %bb.43:                               ;   in Loop: Header=BB8_4 Depth=1
	v_ashrrev_i32_e32 v4, 31, v3
	v_lshlrev_b64 v[19:20], 1, v[3:4]
	v_mov_b32_e32 v4, s29
	v_add_co_u32_e64 v19, s[4:5], s28, v19
	v_add_u32_e32 v18, v13, v17
	v_addc_co_u32_e64 v20, s[4:5], v4, v20, s[4:5]
	global_load_ushort v4, v[19:20], off offset:16
	v_ashrrev_i32_e32 v19, 31, v18
	v_lshlrev_b64 v[18:19], 1, v[18:19]
	v_mov_b32_e32 v20, s27
	v_add_co_u32_e64 v18, s[4:5], s26, v18
	v_addc_co_u32_e64 v19, s[4:5], v20, v19, s[4:5]
	global_load_ushort v18, v[18:19], off
	s_waitcnt vmcnt(0)
	v_fma_mix_f32 v11, v4, v18, v11 op_sel_hi:[1,1,0]
.LBB8_44:                               ;   in Loop: Header=BB8_4 Depth=1
	s_or_b64 exec, exec, s[6:7]
	s_or_b64 exec, exec, s[38:39]
	s_and_saveexec_b64 s[6:7], s[2:3]
	s_cbranch_execz .LBB8_48
.LBB8_45:                               ;   in Loop: Header=BB8_4 Depth=1
	v_cmp_lt_i32_e64 s[2:3], -1, v14
	v_cmp_gt_i32_e64 s[4:5], s12, v14
	s_and_b64 s[2:3], s[2:3], s[4:5]
	s_and_b64 s[4:5], vcc, s[2:3]
	s_and_saveexec_b64 s[2:3], s[4:5]
	s_cbranch_execz .LBB8_47
; %bb.46:                               ;   in Loop: Header=BB8_4 Depth=1
	v_ashrrev_i32_e32 v4, 31, v3
	v_lshlrev_b64 v[18:19], 1, v[3:4]
	v_mov_b32_e32 v4, s29
	v_add_co_u32_e32 v18, vcc, s28, v18
	v_add_u32_e32 v17, v14, v17
	v_addc_co_u32_e32 v19, vcc, v4, v19, vcc
	global_load_ushort v4, v[18:19], off offset:18
	v_ashrrev_i32_e32 v18, 31, v17
	v_lshlrev_b64 v[17:18], 1, v[17:18]
	v_mov_b32_e32 v19, s27
	v_add_co_u32_e32 v17, vcc, s26, v17
	v_addc_co_u32_e32 v18, vcc, v19, v18, vcc
	global_load_ushort v17, v[17:18], off
	s_waitcnt vmcnt(0)
	v_fma_mix_f32 v11, v4, v17, v11 op_sel_hi:[1,1,0]
.LBB8_47:                               ;   in Loop: Header=BB8_4 Depth=1
	s_or_b64 exec, exec, s[2:3]
.LBB8_48:                               ;   in Loop: Header=BB8_4 Depth=1
	s_or_b64 exec, exec, s[6:7]
	v_add_u32_e32 v16, s23, v16
	v_add_u32_e32 v4, v16, v15
	v_mul_lo_u32 v17, v4, s12
	v_cmp_lt_i32_e64 s[2:3], -1, v16
	v_cmp_gt_i32_e32 vcc, s13, v16
	s_and_saveexec_b64 s[38:39], s[2:3]
	s_cbranch_execnz .LBB8_53
; %bb.49:                               ;   in Loop: Header=BB8_4 Depth=1
	s_or_b64 exec, exec, s[38:39]
	s_and_saveexec_b64 s[38:39], s[2:3]
	s_cbranch_execnz .LBB8_56
.LBB8_50:                               ;   in Loop: Header=BB8_4 Depth=1
	s_or_b64 exec, exec, s[38:39]
	s_and_saveexec_b64 s[38:39], s[2:3]
	s_cbranch_execnz .LBB8_59
.LBB8_51:                               ;   in Loop: Header=BB8_4 Depth=1
	s_or_b64 exec, exec, s[38:39]
	s_and_saveexec_b64 s[38:39], s[2:3]
	s_cbranch_execnz .LBB8_62
.LBB8_52:                               ;   in Loop: Header=BB8_4 Depth=1
	s_or_b64 exec, exec, s[38:39]
	s_and_saveexec_b64 s[6:7], s[2:3]
	s_cbranch_execnz .LBB8_65
	s_branch .LBB8_68
.LBB8_53:                               ;   in Loop: Header=BB8_4 Depth=1
	v_cmp_lt_i32_e64 s[4:5], -1, v5
	v_cmp_gt_i32_e64 s[6:7], s12, v5
	s_and_b64 s[4:5], s[4:5], s[6:7]
	s_and_b64 s[4:5], vcc, s[4:5]
	s_and_saveexec_b64 s[6:7], s[4:5]
	s_cbranch_execz .LBB8_55
; %bb.54:                               ;   in Loop: Header=BB8_4 Depth=1
	v_ashrrev_i32_e32 v4, 31, v3
	v_lshlrev_b64 v[19:20], 1, v[3:4]
	v_mov_b32_e32 v4, s29
	v_add_co_u32_e64 v19, s[4:5], s28, v19
	v_add_u32_e32 v18, v5, v17
	v_addc_co_u32_e64 v20, s[4:5], v4, v20, s[4:5]
	global_load_ushort v4, v[19:20], off offset:20
	v_ashrrev_i32_e32 v19, 31, v18
	v_lshlrev_b64 v[18:19], 1, v[18:19]
	v_mov_b32_e32 v20, s27
	v_add_co_u32_e64 v18, s[4:5], s26, v18
	v_addc_co_u32_e64 v19, s[4:5], v20, v19, s[4:5]
	global_load_ushort v18, v[18:19], off
	s_waitcnt vmcnt(0)
	v_fma_mix_f32 v11, v4, v18, v11 op_sel_hi:[1,1,0]
.LBB8_55:                               ;   in Loop: Header=BB8_4 Depth=1
	s_or_b64 exec, exec, s[6:7]
	s_or_b64 exec, exec, s[38:39]
	s_and_saveexec_b64 s[38:39], s[2:3]
	s_cbranch_execz .LBB8_50
.LBB8_56:                               ;   in Loop: Header=BB8_4 Depth=1
	v_cmp_lt_i32_e64 s[4:5], -1, v6
	v_cmp_gt_i32_e64 s[6:7], s12, v6
	s_and_b64 s[4:5], s[4:5], s[6:7]
	s_and_b64 s[4:5], vcc, s[4:5]
	s_and_saveexec_b64 s[6:7], s[4:5]
	s_cbranch_execz .LBB8_58
; %bb.57:                               ;   in Loop: Header=BB8_4 Depth=1
	v_ashrrev_i32_e32 v4, 31, v3
	v_lshlrev_b64 v[19:20], 1, v[3:4]
	v_mov_b32_e32 v4, s29
	v_add_co_u32_e64 v19, s[4:5], s28, v19
	v_add_u32_e32 v18, v6, v17
	v_addc_co_u32_e64 v20, s[4:5], v4, v20, s[4:5]
	global_load_ushort v4, v[19:20], off offset:22
	v_ashrrev_i32_e32 v19, 31, v18
	v_lshlrev_b64 v[18:19], 1, v[18:19]
	v_mov_b32_e32 v20, s27
	v_add_co_u32_e64 v18, s[4:5], s26, v18
	v_addc_co_u32_e64 v19, s[4:5], v20, v19, s[4:5]
	global_load_ushort v18, v[18:19], off
	s_waitcnt vmcnt(0)
	v_fma_mix_f32 v11, v4, v18, v11 op_sel_hi:[1,1,0]
.LBB8_58:                               ;   in Loop: Header=BB8_4 Depth=1
	s_or_b64 exec, exec, s[6:7]
	s_or_b64 exec, exec, s[38:39]
	s_and_saveexec_b64 s[38:39], s[2:3]
	s_cbranch_execz .LBB8_51
.LBB8_59:                               ;   in Loop: Header=BB8_4 Depth=1
	v_cmp_lt_i32_e64 s[4:5], -1, v12
	v_cmp_gt_i32_e64 s[6:7], s12, v12
	s_and_b64 s[4:5], s[4:5], s[6:7]
	s_and_b64 s[4:5], vcc, s[4:5]
	s_and_saveexec_b64 s[6:7], s[4:5]
	s_cbranch_execz .LBB8_61
; %bb.60:                               ;   in Loop: Header=BB8_4 Depth=1
	v_ashrrev_i32_e32 v4, 31, v3
	v_lshlrev_b64 v[19:20], 1, v[3:4]
	v_mov_b32_e32 v4, s29
	v_add_co_u32_e64 v19, s[4:5], s28, v19
	v_add_u32_e32 v18, v12, v17
	v_addc_co_u32_e64 v20, s[4:5], v4, v20, s[4:5]
	global_load_ushort v4, v[19:20], off offset:24
	v_ashrrev_i32_e32 v19, 31, v18
	v_lshlrev_b64 v[18:19], 1, v[18:19]
	v_mov_b32_e32 v20, s27
	v_add_co_u32_e64 v18, s[4:5], s26, v18
	v_addc_co_u32_e64 v19, s[4:5], v20, v19, s[4:5]
	global_load_ushort v18, v[18:19], off
	s_waitcnt vmcnt(0)
	v_fma_mix_f32 v11, v4, v18, v11 op_sel_hi:[1,1,0]
.LBB8_61:                               ;   in Loop: Header=BB8_4 Depth=1
	s_or_b64 exec, exec, s[6:7]
	s_or_b64 exec, exec, s[38:39]
	s_and_saveexec_b64 s[38:39], s[2:3]
	s_cbranch_execz .LBB8_52
.LBB8_62:                               ;   in Loop: Header=BB8_4 Depth=1
	v_cmp_lt_i32_e64 s[4:5], -1, v13
	v_cmp_gt_i32_e64 s[6:7], s12, v13
	s_and_b64 s[4:5], s[4:5], s[6:7]
	s_and_b64 s[4:5], vcc, s[4:5]
	s_and_saveexec_b64 s[6:7], s[4:5]
	s_cbranch_execz .LBB8_64
; %bb.63:                               ;   in Loop: Header=BB8_4 Depth=1
	v_ashrrev_i32_e32 v4, 31, v3
	v_lshlrev_b64 v[19:20], 1, v[3:4]
	v_mov_b32_e32 v4, s29
	v_add_co_u32_e64 v19, s[4:5], s28, v19
	v_add_u32_e32 v18, v13, v17
	v_addc_co_u32_e64 v20, s[4:5], v4, v20, s[4:5]
	global_load_ushort v4, v[19:20], off offset:26
	v_ashrrev_i32_e32 v19, 31, v18
	v_lshlrev_b64 v[18:19], 1, v[18:19]
	v_mov_b32_e32 v20, s27
	v_add_co_u32_e64 v18, s[4:5], s26, v18
	v_addc_co_u32_e64 v19, s[4:5], v20, v19, s[4:5]
	global_load_ushort v18, v[18:19], off
	s_waitcnt vmcnt(0)
	v_fma_mix_f32 v11, v4, v18, v11 op_sel_hi:[1,1,0]
.LBB8_64:                               ;   in Loop: Header=BB8_4 Depth=1
	s_or_b64 exec, exec, s[6:7]
	s_or_b64 exec, exec, s[38:39]
	s_and_saveexec_b64 s[6:7], s[2:3]
	s_cbranch_execz .LBB8_68
.LBB8_65:                               ;   in Loop: Header=BB8_4 Depth=1
	v_cmp_lt_i32_e64 s[2:3], -1, v14
	v_cmp_gt_i32_e64 s[4:5], s12, v14
	s_and_b64 s[2:3], s[2:3], s[4:5]
	s_and_b64 s[4:5], vcc, s[2:3]
	s_and_saveexec_b64 s[2:3], s[4:5]
	s_cbranch_execz .LBB8_67
; %bb.66:                               ;   in Loop: Header=BB8_4 Depth=1
	v_ashrrev_i32_e32 v4, 31, v3
	v_lshlrev_b64 v[18:19], 1, v[3:4]
	v_mov_b32_e32 v4, s29
	v_add_co_u32_e32 v18, vcc, s28, v18
	v_add_u32_e32 v17, v14, v17
	v_addc_co_u32_e32 v19, vcc, v4, v19, vcc
	global_load_ushort v4, v[18:19], off offset:28
	v_ashrrev_i32_e32 v18, 31, v17
	v_lshlrev_b64 v[17:18], 1, v[17:18]
	v_mov_b32_e32 v19, s27
	v_add_co_u32_e32 v17, vcc, s26, v17
	v_addc_co_u32_e32 v18, vcc, v19, v18, vcc
	global_load_ushort v17, v[17:18], off
	s_waitcnt vmcnt(0)
	v_fma_mix_f32 v11, v4, v17, v11 op_sel_hi:[1,1,0]
.LBB8_67:                               ;   in Loop: Header=BB8_4 Depth=1
	s_or_b64 exec, exec, s[2:3]
.LBB8_68:                               ;   in Loop: Header=BB8_4 Depth=1
	s_or_b64 exec, exec, s[6:7]
	v_add_u32_e32 v16, s23, v16
	v_add_u32_e32 v4, v16, v15
	v_mul_lo_u32 v17, v4, s12
	v_cmp_lt_i32_e64 s[2:3], -1, v16
	v_cmp_gt_i32_e32 vcc, s13, v16
	s_and_saveexec_b64 s[38:39], s[2:3]
	s_cbranch_execnz .LBB8_73
; %bb.69:                               ;   in Loop: Header=BB8_4 Depth=1
	s_or_b64 exec, exec, s[38:39]
	s_and_saveexec_b64 s[38:39], s[2:3]
	s_cbranch_execnz .LBB8_76
.LBB8_70:                               ;   in Loop: Header=BB8_4 Depth=1
	s_or_b64 exec, exec, s[38:39]
	s_and_saveexec_b64 s[38:39], s[2:3]
	s_cbranch_execnz .LBB8_79
.LBB8_71:                               ;   in Loop: Header=BB8_4 Depth=1
	s_or_b64 exec, exec, s[38:39]
	s_and_saveexec_b64 s[38:39], s[2:3]
	s_cbranch_execnz .LBB8_82
.LBB8_72:                               ;   in Loop: Header=BB8_4 Depth=1
	s_or_b64 exec, exec, s[38:39]
	s_and_saveexec_b64 s[6:7], s[2:3]
	s_cbranch_execnz .LBB8_85
	s_branch .LBB8_88
.LBB8_73:                               ;   in Loop: Header=BB8_4 Depth=1
	v_cmp_lt_i32_e64 s[4:5], -1, v5
	v_cmp_gt_i32_e64 s[6:7], s12, v5
	s_and_b64 s[4:5], s[4:5], s[6:7]
	s_and_b64 s[4:5], vcc, s[4:5]
	s_and_saveexec_b64 s[6:7], s[4:5]
	s_cbranch_execz .LBB8_75
; %bb.74:                               ;   in Loop: Header=BB8_4 Depth=1
	v_ashrrev_i32_e32 v4, 31, v3
	v_lshlrev_b64 v[19:20], 1, v[3:4]
	v_mov_b32_e32 v4, s29
	v_add_co_u32_e64 v19, s[4:5], s28, v19
	v_add_u32_e32 v18, v5, v17
	v_addc_co_u32_e64 v20, s[4:5], v4, v20, s[4:5]
	global_load_ushort v4, v[19:20], off offset:30
	v_ashrrev_i32_e32 v19, 31, v18
	v_lshlrev_b64 v[18:19], 1, v[18:19]
	v_mov_b32_e32 v20, s27
	v_add_co_u32_e64 v18, s[4:5], s26, v18
	v_addc_co_u32_e64 v19, s[4:5], v20, v19, s[4:5]
	global_load_ushort v18, v[18:19], off
	s_waitcnt vmcnt(0)
	v_fma_mix_f32 v11, v4, v18, v11 op_sel_hi:[1,1,0]
.LBB8_75:                               ;   in Loop: Header=BB8_4 Depth=1
	s_or_b64 exec, exec, s[6:7]
	s_or_b64 exec, exec, s[38:39]
	s_and_saveexec_b64 s[38:39], s[2:3]
	s_cbranch_execz .LBB8_70
.LBB8_76:                               ;   in Loop: Header=BB8_4 Depth=1
	v_cmp_lt_i32_e64 s[4:5], -1, v6
	v_cmp_gt_i32_e64 s[6:7], s12, v6
	s_and_b64 s[4:5], s[4:5], s[6:7]
	s_and_b64 s[4:5], vcc, s[4:5]
	s_and_saveexec_b64 s[6:7], s[4:5]
	s_cbranch_execz .LBB8_78
; %bb.77:                               ;   in Loop: Header=BB8_4 Depth=1
	v_ashrrev_i32_e32 v4, 31, v3
	v_lshlrev_b64 v[19:20], 1, v[3:4]
	v_mov_b32_e32 v4, s29
	v_add_co_u32_e64 v19, s[4:5], s28, v19
	v_add_u32_e32 v18, v6, v17
	v_addc_co_u32_e64 v20, s[4:5], v4, v20, s[4:5]
	global_load_ushort v4, v[19:20], off offset:32
	v_ashrrev_i32_e32 v19, 31, v18
	v_lshlrev_b64 v[18:19], 1, v[18:19]
	v_mov_b32_e32 v20, s27
	v_add_co_u32_e64 v18, s[4:5], s26, v18
	v_addc_co_u32_e64 v19, s[4:5], v20, v19, s[4:5]
	global_load_ushort v18, v[18:19], off
	s_waitcnt vmcnt(0)
	v_fma_mix_f32 v11, v4, v18, v11 op_sel_hi:[1,1,0]
.LBB8_78:                               ;   in Loop: Header=BB8_4 Depth=1
	s_or_b64 exec, exec, s[6:7]
	s_or_b64 exec, exec, s[38:39]
	s_and_saveexec_b64 s[38:39], s[2:3]
	s_cbranch_execz .LBB8_71
.LBB8_79:                               ;   in Loop: Header=BB8_4 Depth=1
	v_cmp_lt_i32_e64 s[4:5], -1, v12
	v_cmp_gt_i32_e64 s[6:7], s12, v12
	s_and_b64 s[4:5], s[4:5], s[6:7]
	s_and_b64 s[4:5], vcc, s[4:5]
	s_and_saveexec_b64 s[6:7], s[4:5]
	s_cbranch_execz .LBB8_81
; %bb.80:                               ;   in Loop: Header=BB8_4 Depth=1
	v_ashrrev_i32_e32 v4, 31, v3
	v_lshlrev_b64 v[19:20], 1, v[3:4]
	v_mov_b32_e32 v4, s29
	v_add_co_u32_e64 v19, s[4:5], s28, v19
	v_add_u32_e32 v18, v12, v17
	v_addc_co_u32_e64 v20, s[4:5], v4, v20, s[4:5]
	global_load_ushort v4, v[19:20], off offset:34
	v_ashrrev_i32_e32 v19, 31, v18
	v_lshlrev_b64 v[18:19], 1, v[18:19]
	v_mov_b32_e32 v20, s27
	v_add_co_u32_e64 v18, s[4:5], s26, v18
	v_addc_co_u32_e64 v19, s[4:5], v20, v19, s[4:5]
	global_load_ushort v18, v[18:19], off
	s_waitcnt vmcnt(0)
	v_fma_mix_f32 v11, v4, v18, v11 op_sel_hi:[1,1,0]
.LBB8_81:                               ;   in Loop: Header=BB8_4 Depth=1
	s_or_b64 exec, exec, s[6:7]
	s_or_b64 exec, exec, s[38:39]
	s_and_saveexec_b64 s[38:39], s[2:3]
	s_cbranch_execz .LBB8_72
.LBB8_82:                               ;   in Loop: Header=BB8_4 Depth=1
	v_cmp_lt_i32_e64 s[4:5], -1, v13
	v_cmp_gt_i32_e64 s[6:7], s12, v13
	s_and_b64 s[4:5], s[4:5], s[6:7]
	s_and_b64 s[4:5], vcc, s[4:5]
	s_and_saveexec_b64 s[6:7], s[4:5]
	s_cbranch_execz .LBB8_84
; %bb.83:                               ;   in Loop: Header=BB8_4 Depth=1
	v_ashrrev_i32_e32 v4, 31, v3
	v_lshlrev_b64 v[19:20], 1, v[3:4]
	v_mov_b32_e32 v4, s29
	v_add_co_u32_e64 v19, s[4:5], s28, v19
	v_add_u32_e32 v18, v13, v17
	v_addc_co_u32_e64 v20, s[4:5], v4, v20, s[4:5]
	global_load_ushort v4, v[19:20], off offset:36
	v_ashrrev_i32_e32 v19, 31, v18
	v_lshlrev_b64 v[18:19], 1, v[18:19]
	v_mov_b32_e32 v20, s27
	v_add_co_u32_e64 v18, s[4:5], s26, v18
	v_addc_co_u32_e64 v19, s[4:5], v20, v19, s[4:5]
	global_load_ushort v18, v[18:19], off
	s_waitcnt vmcnt(0)
	v_fma_mix_f32 v11, v4, v18, v11 op_sel_hi:[1,1,0]
.LBB8_84:                               ;   in Loop: Header=BB8_4 Depth=1
	s_or_b64 exec, exec, s[6:7]
	s_or_b64 exec, exec, s[38:39]
	s_and_saveexec_b64 s[6:7], s[2:3]
	s_cbranch_execz .LBB8_88
.LBB8_85:                               ;   in Loop: Header=BB8_4 Depth=1
	v_cmp_lt_i32_e64 s[2:3], -1, v14
	v_cmp_gt_i32_e64 s[4:5], s12, v14
	s_and_b64 s[2:3], s[2:3], s[4:5]
	s_and_b64 s[4:5], vcc, s[2:3]
	s_and_saveexec_b64 s[2:3], s[4:5]
	s_cbranch_execz .LBB8_87
; %bb.86:                               ;   in Loop: Header=BB8_4 Depth=1
	v_ashrrev_i32_e32 v4, 31, v3
	v_lshlrev_b64 v[18:19], 1, v[3:4]
	v_mov_b32_e32 v4, s29
	v_add_co_u32_e32 v18, vcc, s28, v18
	v_add_u32_e32 v17, v14, v17
	v_addc_co_u32_e32 v19, vcc, v4, v19, vcc
	global_load_ushort v4, v[18:19], off offset:38
	v_ashrrev_i32_e32 v18, 31, v17
	v_lshlrev_b64 v[17:18], 1, v[17:18]
	v_mov_b32_e32 v19, s27
	v_add_co_u32_e32 v17, vcc, s26, v17
	v_addc_co_u32_e32 v18, vcc, v19, v18, vcc
	global_load_ushort v17, v[17:18], off
	s_waitcnt vmcnt(0)
	v_fma_mix_f32 v11, v4, v17, v11 op_sel_hi:[1,1,0]
.LBB8_87:                               ;   in Loop: Header=BB8_4 Depth=1
	s_or_b64 exec, exec, s[2:3]
.LBB8_88:                               ;   in Loop: Header=BB8_4 Depth=1
	s_or_b64 exec, exec, s[6:7]
	v_add_u32_e32 v4, s23, v16
	v_add_u32_e32 v15, v4, v15
	v_mul_lo_u32 v15, v15, s12
	v_cmp_lt_i32_e64 s[2:3], -1, v4
	v_cmp_gt_i32_e32 vcc, s13, v4
	s_and_saveexec_b64 s[38:39], s[2:3]
	s_cbranch_execnz .LBB8_93
; %bb.89:                               ;   in Loop: Header=BB8_4 Depth=1
	s_or_b64 exec, exec, s[38:39]
	s_and_saveexec_b64 s[38:39], s[2:3]
	s_cbranch_execnz .LBB8_96
.LBB8_90:                               ;   in Loop: Header=BB8_4 Depth=1
	s_or_b64 exec, exec, s[38:39]
	s_and_saveexec_b64 s[38:39], s[2:3]
	s_cbranch_execnz .LBB8_99
.LBB8_91:                               ;   in Loop: Header=BB8_4 Depth=1
	s_or_b64 exec, exec, s[38:39]
	s_and_saveexec_b64 s[38:39], s[2:3]
	s_cbranch_execnz .LBB8_102
.LBB8_92:                               ;   in Loop: Header=BB8_4 Depth=1
	s_or_b64 exec, exec, s[38:39]
	s_and_saveexec_b64 s[6:7], s[2:3]
	s_cbranch_execz .LBB8_3
	s_branch .LBB8_105
.LBB8_93:                               ;   in Loop: Header=BB8_4 Depth=1
	v_cmp_lt_i32_e64 s[4:5], -1, v5
	v_cmp_gt_i32_e64 s[6:7], s12, v5
	s_and_b64 s[4:5], s[4:5], s[6:7]
	s_and_b64 s[4:5], vcc, s[4:5]
	s_and_saveexec_b64 s[6:7], s[4:5]
	s_cbranch_execz .LBB8_95
; %bb.94:                               ;   in Loop: Header=BB8_4 Depth=1
	v_ashrrev_i32_e32 v4, 31, v3
	v_add_u32_e32 v16, v5, v15
	v_lshlrev_b64 v[4:5], 1, v[3:4]
	v_mov_b32_e32 v17, s29
	v_add_co_u32_e64 v4, s[4:5], s28, v4
	v_addc_co_u32_e64 v5, s[4:5], v17, v5, s[4:5]
	v_ashrrev_i32_e32 v17, 31, v16
	global_load_ushort v18, v[4:5], off offset:40
	v_lshlrev_b64 v[4:5], 1, v[16:17]
	v_mov_b32_e32 v16, s27
	v_add_co_u32_e64 v4, s[4:5], s26, v4
	v_addc_co_u32_e64 v5, s[4:5], v16, v5, s[4:5]
	global_load_ushort v4, v[4:5], off
	s_waitcnt vmcnt(0)
	v_fma_mix_f32 v11, v18, v4, v11 op_sel_hi:[1,1,0]
.LBB8_95:                               ;   in Loop: Header=BB8_4 Depth=1
	s_or_b64 exec, exec, s[6:7]
	s_or_b64 exec, exec, s[38:39]
	s_and_saveexec_b64 s[38:39], s[2:3]
	s_cbranch_execz .LBB8_90
.LBB8_96:                               ;   in Loop: Header=BB8_4 Depth=1
	v_cmp_lt_i32_e64 s[4:5], -1, v6
	v_cmp_gt_i32_e64 s[6:7], s12, v6
	s_and_b64 s[4:5], s[4:5], s[6:7]
	s_and_b64 s[4:5], vcc, s[4:5]
	s_and_saveexec_b64 s[6:7], s[4:5]
	s_cbranch_execz .LBB8_98
; %bb.97:                               ;   in Loop: Header=BB8_4 Depth=1
	v_ashrrev_i32_e32 v4, 31, v3
	v_lshlrev_b64 v[16:17], 1, v[3:4]
	v_add_u32_e32 v5, v6, v15
	v_mov_b32_e32 v4, s29
	v_add_co_u32_e64 v16, s[4:5], s28, v16
	v_ashrrev_i32_e32 v6, 31, v5
	v_addc_co_u32_e64 v17, s[4:5], v4, v17, s[4:5]
	v_lshlrev_b64 v[4:5], 1, v[5:6]
	v_mov_b32_e32 v6, s27
	v_add_co_u32_e64 v4, s[4:5], s26, v4
	v_addc_co_u32_e64 v5, s[4:5], v6, v5, s[4:5]
	global_load_ushort v16, v[16:17], off offset:42
	s_nop 0
	global_load_ushort v4, v[4:5], off
	s_waitcnt vmcnt(0)
	v_fma_mix_f32 v11, v16, v4, v11 op_sel_hi:[1,1,0]
.LBB8_98:                               ;   in Loop: Header=BB8_4 Depth=1
	s_or_b64 exec, exec, s[6:7]
	s_or_b64 exec, exec, s[38:39]
	s_and_saveexec_b64 s[38:39], s[2:3]
	s_cbranch_execz .LBB8_91
.LBB8_99:                               ;   in Loop: Header=BB8_4 Depth=1
	v_cmp_lt_i32_e64 s[4:5], -1, v12
	v_cmp_gt_i32_e64 s[6:7], s12, v12
	s_and_b64 s[4:5], s[4:5], s[6:7]
	s_and_b64 s[4:5], vcc, s[4:5]
	s_and_saveexec_b64 s[6:7], s[4:5]
	s_cbranch_execz .LBB8_101
; %bb.100:                              ;   in Loop: Header=BB8_4 Depth=1
	v_ashrrev_i32_e32 v4, 31, v3
	v_lshlrev_b64 v[16:17], 1, v[3:4]
	v_add_u32_e32 v5, v12, v15
	v_mov_b32_e32 v4, s29
	v_add_co_u32_e64 v16, s[4:5], s28, v16
	v_ashrrev_i32_e32 v6, 31, v5
	v_addc_co_u32_e64 v17, s[4:5], v4, v17, s[4:5]
	v_lshlrev_b64 v[4:5], 1, v[5:6]
	v_mov_b32_e32 v6, s27
	v_add_co_u32_e64 v4, s[4:5], s26, v4
	v_addc_co_u32_e64 v5, s[4:5], v6, v5, s[4:5]
	global_load_ushort v12, v[16:17], off offset:44
	s_nop 0
	global_load_ushort v4, v[4:5], off
	s_waitcnt vmcnt(0)
	v_fma_mix_f32 v11, v12, v4, v11 op_sel_hi:[1,1,0]
.LBB8_101:                              ;   in Loop: Header=BB8_4 Depth=1
	s_or_b64 exec, exec, s[6:7]
	s_or_b64 exec, exec, s[38:39]
	s_and_saveexec_b64 s[38:39], s[2:3]
	s_cbranch_execz .LBB8_92
.LBB8_102:                              ;   in Loop: Header=BB8_4 Depth=1
	v_cmp_lt_i32_e64 s[4:5], -1, v13
	v_cmp_gt_i32_e64 s[6:7], s12, v13
	s_and_b64 s[4:5], s[4:5], s[6:7]
	s_and_b64 s[4:5], vcc, s[4:5]
	s_and_saveexec_b64 s[6:7], s[4:5]
	s_cbranch_execz .LBB8_104
; %bb.103:                              ;   in Loop: Header=BB8_4 Depth=1
	v_ashrrev_i32_e32 v4, 31, v3
	v_add_u32_e32 v5, v13, v15
	v_lshlrev_b64 v[12:13], 1, v[3:4]
	v_mov_b32_e32 v4, s29
	v_add_co_u32_e64 v12, s[4:5], s28, v12
	v_ashrrev_i32_e32 v6, 31, v5
	v_addc_co_u32_e64 v13, s[4:5], v4, v13, s[4:5]
	v_lshlrev_b64 v[4:5], 1, v[5:6]
	v_mov_b32_e32 v6, s27
	v_add_co_u32_e64 v4, s[4:5], s26, v4
	v_addc_co_u32_e64 v5, s[4:5], v6, v5, s[4:5]
	global_load_ushort v12, v[12:13], off offset:46
	s_nop 0
	global_load_ushort v4, v[4:5], off
	s_waitcnt vmcnt(0)
	v_fma_mix_f32 v11, v12, v4, v11 op_sel_hi:[1,1,0]
.LBB8_104:                              ;   in Loop: Header=BB8_4 Depth=1
	s_or_b64 exec, exec, s[6:7]
	s_or_b64 exec, exec, s[38:39]
	s_and_saveexec_b64 s[6:7], s[2:3]
	s_cbranch_execz .LBB8_3
.LBB8_105:                              ;   in Loop: Header=BB8_4 Depth=1
	v_cmp_lt_i32_e64 s[2:3], -1, v14
	v_cmp_gt_i32_e64 s[4:5], s12, v14
	s_and_b64 s[2:3], s[2:3], s[4:5]
	s_and_b64 s[4:5], vcc, s[2:3]
	s_and_saveexec_b64 s[2:3], s[4:5]
	s_cbranch_execz .LBB8_2
; %bb.106:                              ;   in Loop: Header=BB8_4 Depth=1
	v_ashrrev_i32_e32 v4, 31, v3
	v_lshlrev_b64 v[3:4], 1, v[3:4]
	v_add_u32_e32 v5, v14, v15
	v_mov_b32_e32 v6, s29
	v_add_co_u32_e32 v3, vcc, s28, v3
	v_addc_co_u32_e32 v4, vcc, v6, v4, vcc
	v_ashrrev_i32_e32 v6, 31, v5
	global_load_ushort v12, v[3:4], off offset:48
	v_lshlrev_b64 v[3:4], 1, v[5:6]
	v_mov_b32_e32 v5, s27
	v_add_co_u32_e32 v3, vcc, s26, v3
	v_addc_co_u32_e32 v4, vcc, v5, v4, vcc
	global_load_ushort v3, v[3:4], off
	s_waitcnt vmcnt(0)
	v_fma_mix_f32 v11, v12, v3, v11 op_sel_hi:[1,1,0]
	s_branch .LBB8_2
.LBB8_107:
	s_endpgm
	.section	.rodata,"a",@progbits
	.p2align	6, 0x0
	.amdhsa_kernel _ZN2at6native12_GLOBAL__N_131conv_depthwise2d_forward_kernelILi5EN3c104HalfEiEEvN5torch10headeronly6detail27GenericPackedTensorAccessorINS7_14TensorAccessorINS3_8ArrayRefIlEEKT0_Lm3ENS6_16DefaultPtrTraitsEiEENS_6detail16IndexBoundsCheckILm4EiEESD_Lm4ESE_iEENS8_INS9_ISB_SC_Lm3ESE_iEESI_SC_Lm4ESE_iEESJ_NS8_INS9_ISB_SD_Lm0ESE_iEENSH_ILm1EiEESD_Lm1ESE_iEEbT1_iiiiiiiiiiiiii
		.amdhsa_group_segment_fixed_size 0
		.amdhsa_private_segment_fixed_size 0
		.amdhsa_kernarg_size 456
		.amdhsa_user_sgpr_count 6
		.amdhsa_user_sgpr_private_segment_buffer 1
		.amdhsa_user_sgpr_dispatch_ptr 0
		.amdhsa_user_sgpr_queue_ptr 0
		.amdhsa_user_sgpr_kernarg_segment_ptr 1
		.amdhsa_user_sgpr_dispatch_id 0
		.amdhsa_user_sgpr_flat_scratch_init 0
		.amdhsa_user_sgpr_private_segment_size 0
		.amdhsa_uses_dynamic_stack 0
		.amdhsa_system_sgpr_private_segment_wavefront_offset 0
		.amdhsa_system_sgpr_workgroup_id_x 1
		.amdhsa_system_sgpr_workgroup_id_y 0
		.amdhsa_system_sgpr_workgroup_id_z 0
		.amdhsa_system_sgpr_workgroup_info 0
		.amdhsa_system_vgpr_workitem_id 0
		.amdhsa_next_free_vgpr 21
		.amdhsa_next_free_sgpr 51
		.amdhsa_reserve_vcc 1
		.amdhsa_reserve_flat_scratch 0
		.amdhsa_float_round_mode_32 0
		.amdhsa_float_round_mode_16_64 0
		.amdhsa_float_denorm_mode_32 3
		.amdhsa_float_denorm_mode_16_64 3
		.amdhsa_dx10_clamp 1
		.amdhsa_ieee_mode 1
		.amdhsa_fp16_overflow 0
		.amdhsa_exception_fp_ieee_invalid_op 0
		.amdhsa_exception_fp_denorm_src 0
		.amdhsa_exception_fp_ieee_div_zero 0
		.amdhsa_exception_fp_ieee_overflow 0
		.amdhsa_exception_fp_ieee_underflow 0
		.amdhsa_exception_fp_ieee_inexact 0
		.amdhsa_exception_int_div_zero 0
	.end_amdhsa_kernel
	.section	.text._ZN2at6native12_GLOBAL__N_131conv_depthwise2d_forward_kernelILi5EN3c104HalfEiEEvN5torch10headeronly6detail27GenericPackedTensorAccessorINS7_14TensorAccessorINS3_8ArrayRefIlEEKT0_Lm3ENS6_16DefaultPtrTraitsEiEENS_6detail16IndexBoundsCheckILm4EiEESD_Lm4ESE_iEENS8_INS9_ISB_SC_Lm3ESE_iEESI_SC_Lm4ESE_iEESJ_NS8_INS9_ISB_SD_Lm0ESE_iEENSH_ILm1EiEESD_Lm1ESE_iEEbT1_iiiiiiiiiiiiii,"axG",@progbits,_ZN2at6native12_GLOBAL__N_131conv_depthwise2d_forward_kernelILi5EN3c104HalfEiEEvN5torch10headeronly6detail27GenericPackedTensorAccessorINS7_14TensorAccessorINS3_8ArrayRefIlEEKT0_Lm3ENS6_16DefaultPtrTraitsEiEENS_6detail16IndexBoundsCheckILm4EiEESD_Lm4ESE_iEENS8_INS9_ISB_SC_Lm3ESE_iEESI_SC_Lm4ESE_iEESJ_NS8_INS9_ISB_SD_Lm0ESE_iEENSH_ILm1EiEESD_Lm1ESE_iEEbT1_iiiiiiiiiiiiii,comdat
.Lfunc_end8:
	.size	_ZN2at6native12_GLOBAL__N_131conv_depthwise2d_forward_kernelILi5EN3c104HalfEiEEvN5torch10headeronly6detail27GenericPackedTensorAccessorINS7_14TensorAccessorINS3_8ArrayRefIlEEKT0_Lm3ENS6_16DefaultPtrTraitsEiEENS_6detail16IndexBoundsCheckILm4EiEESD_Lm4ESE_iEENS8_INS9_ISB_SC_Lm3ESE_iEESI_SC_Lm4ESE_iEESJ_NS8_INS9_ISB_SD_Lm0ESE_iEENSH_ILm1EiEESD_Lm1ESE_iEEbT1_iiiiiiiiiiiiii, .Lfunc_end8-_ZN2at6native12_GLOBAL__N_131conv_depthwise2d_forward_kernelILi5EN3c104HalfEiEEvN5torch10headeronly6detail27GenericPackedTensorAccessorINS7_14TensorAccessorINS3_8ArrayRefIlEEKT0_Lm3ENS6_16DefaultPtrTraitsEiEENS_6detail16IndexBoundsCheckILm4EiEESD_Lm4ESE_iEENS8_INS9_ISB_SC_Lm3ESE_iEESI_SC_Lm4ESE_iEESJ_NS8_INS9_ISB_SD_Lm0ESE_iEENSH_ILm1EiEESD_Lm1ESE_iEEbT1_iiiiiiiiiiiiii
                                        ; -- End function
	.set _ZN2at6native12_GLOBAL__N_131conv_depthwise2d_forward_kernelILi5EN3c104HalfEiEEvN5torch10headeronly6detail27GenericPackedTensorAccessorINS7_14TensorAccessorINS3_8ArrayRefIlEEKT0_Lm3ENS6_16DefaultPtrTraitsEiEENS_6detail16IndexBoundsCheckILm4EiEESD_Lm4ESE_iEENS8_INS9_ISB_SC_Lm3ESE_iEESI_SC_Lm4ESE_iEESJ_NS8_INS9_ISB_SD_Lm0ESE_iEENSH_ILm1EiEESD_Lm1ESE_iEEbT1_iiiiiiiiiiiiii.num_vgpr, 21
	.set _ZN2at6native12_GLOBAL__N_131conv_depthwise2d_forward_kernelILi5EN3c104HalfEiEEvN5torch10headeronly6detail27GenericPackedTensorAccessorINS7_14TensorAccessorINS3_8ArrayRefIlEEKT0_Lm3ENS6_16DefaultPtrTraitsEiEENS_6detail16IndexBoundsCheckILm4EiEESD_Lm4ESE_iEENS8_INS9_ISB_SC_Lm3ESE_iEESI_SC_Lm4ESE_iEESJ_NS8_INS9_ISB_SD_Lm0ESE_iEENSH_ILm1EiEESD_Lm1ESE_iEEbT1_iiiiiiiiiiiiii.num_agpr, 0
	.set _ZN2at6native12_GLOBAL__N_131conv_depthwise2d_forward_kernelILi5EN3c104HalfEiEEvN5torch10headeronly6detail27GenericPackedTensorAccessorINS7_14TensorAccessorINS3_8ArrayRefIlEEKT0_Lm3ENS6_16DefaultPtrTraitsEiEENS_6detail16IndexBoundsCheckILm4EiEESD_Lm4ESE_iEENS8_INS9_ISB_SC_Lm3ESE_iEESI_SC_Lm4ESE_iEESJ_NS8_INS9_ISB_SD_Lm0ESE_iEENSH_ILm1EiEESD_Lm1ESE_iEEbT1_iiiiiiiiiiiiii.numbered_sgpr, 51
	.set _ZN2at6native12_GLOBAL__N_131conv_depthwise2d_forward_kernelILi5EN3c104HalfEiEEvN5torch10headeronly6detail27GenericPackedTensorAccessorINS7_14TensorAccessorINS3_8ArrayRefIlEEKT0_Lm3ENS6_16DefaultPtrTraitsEiEENS_6detail16IndexBoundsCheckILm4EiEESD_Lm4ESE_iEENS8_INS9_ISB_SC_Lm3ESE_iEESI_SC_Lm4ESE_iEESJ_NS8_INS9_ISB_SD_Lm0ESE_iEENSH_ILm1EiEESD_Lm1ESE_iEEbT1_iiiiiiiiiiiiii.num_named_barrier, 0
	.set _ZN2at6native12_GLOBAL__N_131conv_depthwise2d_forward_kernelILi5EN3c104HalfEiEEvN5torch10headeronly6detail27GenericPackedTensorAccessorINS7_14TensorAccessorINS3_8ArrayRefIlEEKT0_Lm3ENS6_16DefaultPtrTraitsEiEENS_6detail16IndexBoundsCheckILm4EiEESD_Lm4ESE_iEENS8_INS9_ISB_SC_Lm3ESE_iEESI_SC_Lm4ESE_iEESJ_NS8_INS9_ISB_SD_Lm0ESE_iEENSH_ILm1EiEESD_Lm1ESE_iEEbT1_iiiiiiiiiiiiii.private_seg_size, 0
	.set _ZN2at6native12_GLOBAL__N_131conv_depthwise2d_forward_kernelILi5EN3c104HalfEiEEvN5torch10headeronly6detail27GenericPackedTensorAccessorINS7_14TensorAccessorINS3_8ArrayRefIlEEKT0_Lm3ENS6_16DefaultPtrTraitsEiEENS_6detail16IndexBoundsCheckILm4EiEESD_Lm4ESE_iEENS8_INS9_ISB_SC_Lm3ESE_iEESI_SC_Lm4ESE_iEESJ_NS8_INS9_ISB_SD_Lm0ESE_iEENSH_ILm1EiEESD_Lm1ESE_iEEbT1_iiiiiiiiiiiiii.uses_vcc, 1
	.set _ZN2at6native12_GLOBAL__N_131conv_depthwise2d_forward_kernelILi5EN3c104HalfEiEEvN5torch10headeronly6detail27GenericPackedTensorAccessorINS7_14TensorAccessorINS3_8ArrayRefIlEEKT0_Lm3ENS6_16DefaultPtrTraitsEiEENS_6detail16IndexBoundsCheckILm4EiEESD_Lm4ESE_iEENS8_INS9_ISB_SC_Lm3ESE_iEESI_SC_Lm4ESE_iEESJ_NS8_INS9_ISB_SD_Lm0ESE_iEENSH_ILm1EiEESD_Lm1ESE_iEEbT1_iiiiiiiiiiiiii.uses_flat_scratch, 0
	.set _ZN2at6native12_GLOBAL__N_131conv_depthwise2d_forward_kernelILi5EN3c104HalfEiEEvN5torch10headeronly6detail27GenericPackedTensorAccessorINS7_14TensorAccessorINS3_8ArrayRefIlEEKT0_Lm3ENS6_16DefaultPtrTraitsEiEENS_6detail16IndexBoundsCheckILm4EiEESD_Lm4ESE_iEENS8_INS9_ISB_SC_Lm3ESE_iEESI_SC_Lm4ESE_iEESJ_NS8_INS9_ISB_SD_Lm0ESE_iEENSH_ILm1EiEESD_Lm1ESE_iEEbT1_iiiiiiiiiiiiii.has_dyn_sized_stack, 0
	.set _ZN2at6native12_GLOBAL__N_131conv_depthwise2d_forward_kernelILi5EN3c104HalfEiEEvN5torch10headeronly6detail27GenericPackedTensorAccessorINS7_14TensorAccessorINS3_8ArrayRefIlEEKT0_Lm3ENS6_16DefaultPtrTraitsEiEENS_6detail16IndexBoundsCheckILm4EiEESD_Lm4ESE_iEENS8_INS9_ISB_SC_Lm3ESE_iEESI_SC_Lm4ESE_iEESJ_NS8_INS9_ISB_SD_Lm0ESE_iEENSH_ILm1EiEESD_Lm1ESE_iEEbT1_iiiiiiiiiiiiii.has_recursion, 0
	.set _ZN2at6native12_GLOBAL__N_131conv_depthwise2d_forward_kernelILi5EN3c104HalfEiEEvN5torch10headeronly6detail27GenericPackedTensorAccessorINS7_14TensorAccessorINS3_8ArrayRefIlEEKT0_Lm3ENS6_16DefaultPtrTraitsEiEENS_6detail16IndexBoundsCheckILm4EiEESD_Lm4ESE_iEENS8_INS9_ISB_SC_Lm3ESE_iEESI_SC_Lm4ESE_iEESJ_NS8_INS9_ISB_SD_Lm0ESE_iEENSH_ILm1EiEESD_Lm1ESE_iEEbT1_iiiiiiiiiiiiii.has_indirect_call, 0
	.section	.AMDGPU.csdata,"",@progbits
; Kernel info:
; codeLenInByte = 4952
; TotalNumSgprs: 55
; NumVgprs: 21
; ScratchSize: 0
; MemoryBound: 0
; FloatMode: 240
; IeeeMode: 1
; LDSByteSize: 0 bytes/workgroup (compile time only)
; SGPRBlocks: 6
; VGPRBlocks: 5
; NumSGPRsForWavesPerEU: 55
; NumVGPRsForWavesPerEU: 21
; Occupancy: 10
; WaveLimiterHint : 0
; COMPUTE_PGM_RSRC2:SCRATCH_EN: 0
; COMPUTE_PGM_RSRC2:USER_SGPR: 6
; COMPUTE_PGM_RSRC2:TRAP_HANDLER: 0
; COMPUTE_PGM_RSRC2:TGID_X_EN: 1
; COMPUTE_PGM_RSRC2:TGID_Y_EN: 0
; COMPUTE_PGM_RSRC2:TGID_Z_EN: 0
; COMPUTE_PGM_RSRC2:TIDIG_COMP_CNT: 0
	.section	.text._ZN2at6native12_GLOBAL__N_131conv_depthwise2d_forward_kernelILi3EN3c104HalfEiEEvN5torch10headeronly6detail27GenericPackedTensorAccessorINS7_14TensorAccessorINS3_8ArrayRefIlEEKT0_Lm3ENS6_16DefaultPtrTraitsEiEENS_6detail16IndexBoundsCheckILm4EiEESD_Lm4ESE_iEENS8_INS9_ISB_SC_Lm3ESE_iEESI_SC_Lm4ESE_iEESJ_NS8_INS9_ISB_SD_Lm0ESE_iEENSH_ILm1EiEESD_Lm1ESE_iEEbT1_iiiiiiiiiiiiii,"axG",@progbits,_ZN2at6native12_GLOBAL__N_131conv_depthwise2d_forward_kernelILi3EN3c104HalfEiEEvN5torch10headeronly6detail27GenericPackedTensorAccessorINS7_14TensorAccessorINS3_8ArrayRefIlEEKT0_Lm3ENS6_16DefaultPtrTraitsEiEENS_6detail16IndexBoundsCheckILm4EiEESD_Lm4ESE_iEENS8_INS9_ISB_SC_Lm3ESE_iEESI_SC_Lm4ESE_iEESJ_NS8_INS9_ISB_SD_Lm0ESE_iEENSH_ILm1EiEESD_Lm1ESE_iEEbT1_iiiiiiiiiiiiii,comdat
	.globl	_ZN2at6native12_GLOBAL__N_131conv_depthwise2d_forward_kernelILi3EN3c104HalfEiEEvN5torch10headeronly6detail27GenericPackedTensorAccessorINS7_14TensorAccessorINS3_8ArrayRefIlEEKT0_Lm3ENS6_16DefaultPtrTraitsEiEENS_6detail16IndexBoundsCheckILm4EiEESD_Lm4ESE_iEENS8_INS9_ISB_SC_Lm3ESE_iEESI_SC_Lm4ESE_iEESJ_NS8_INS9_ISB_SD_Lm0ESE_iEENSH_ILm1EiEESD_Lm1ESE_iEEbT1_iiiiiiiiiiiiii ; -- Begin function _ZN2at6native12_GLOBAL__N_131conv_depthwise2d_forward_kernelILi3EN3c104HalfEiEEvN5torch10headeronly6detail27GenericPackedTensorAccessorINS7_14TensorAccessorINS3_8ArrayRefIlEEKT0_Lm3ENS6_16DefaultPtrTraitsEiEENS_6detail16IndexBoundsCheckILm4EiEESD_Lm4ESE_iEENS8_INS9_ISB_SC_Lm3ESE_iEESI_SC_Lm4ESE_iEESJ_NS8_INS9_ISB_SD_Lm0ESE_iEENSH_ILm1EiEESD_Lm1ESE_iEEbT1_iiiiiiiiiiiiii
	.p2align	8
	.type	_ZN2at6native12_GLOBAL__N_131conv_depthwise2d_forward_kernelILi3EN3c104HalfEiEEvN5torch10headeronly6detail27GenericPackedTensorAccessorINS7_14TensorAccessorINS3_8ArrayRefIlEEKT0_Lm3ENS6_16DefaultPtrTraitsEiEENS_6detail16IndexBoundsCheckILm4EiEESD_Lm4ESE_iEENS8_INS9_ISB_SC_Lm3ESE_iEESI_SC_Lm4ESE_iEESJ_NS8_INS9_ISB_SD_Lm0ESE_iEENSH_ILm1EiEESD_Lm1ESE_iEEbT1_iiiiiiiiiiiiii,@function
_ZN2at6native12_GLOBAL__N_131conv_depthwise2d_forward_kernelILi3EN3c104HalfEiEEvN5torch10headeronly6detail27GenericPackedTensorAccessorINS7_14TensorAccessorINS3_8ArrayRefIlEEKT0_Lm3ENS6_16DefaultPtrTraitsEiEENS_6detail16IndexBoundsCheckILm4EiEESD_Lm4ESE_iEENS8_INS9_ISB_SC_Lm3ESE_iEESI_SC_Lm4ESE_iEESJ_NS8_INS9_ISB_SD_Lm0ESE_iEENSH_ILm1EiEESD_Lm1ESE_iEEbT1_iiiiiiiiiiiiii: ; @_ZN2at6native12_GLOBAL__N_131conv_depthwise2d_forward_kernelILi3EN3c104HalfEiEEvN5torch10headeronly6detail27GenericPackedTensorAccessorINS7_14TensorAccessorINS3_8ArrayRefIlEEKT0_Lm3ENS6_16DefaultPtrTraitsEiEENS_6detail16IndexBoundsCheckILm4EiEESD_Lm4ESE_iEENS8_INS9_ISB_SC_Lm3ESE_iEESI_SC_Lm4ESE_iEESJ_NS8_INS9_ISB_SD_Lm0ESE_iEENSH_ILm1EiEESD_Lm1ESE_iEEbT1_iiiiiiiiiiiiii
; %bb.0:
	s_load_dword s0, s[4:5], 0xd4
	s_load_dwordx16 s[8:23], s[4:5], 0x88
	s_add_u32 s2, s4, 0xc8
	s_addc_u32 s3, s5, 0
	v_mov_b32_e32 v7, 0
	s_waitcnt lgkmcnt(0)
	s_and_b32 s7, s0, 0xffff
	s_mul_hi_u32 s33, s7, s6
	s_mul_i32 s40, s7, s6
	v_mov_b32_e32 v2, s33
	v_add_co_u32_e32 v1, vcc, s40, v0
	v_addc_co_u32_e32 v2, vcc, 0, v2, vcc
	s_ashr_i32 s25, s9, 31
	s_mov_b32 s24, s9
	v_cmp_gt_i64_e32 vcc, s[24:25], v[1:2]
	s_and_saveexec_b64 s[0:1], vcc
	s_cbranch_execz .LBB9_43
; %bb.1:
	s_bitcmp1_b32 s8, 0
	s_cselect_b64 s[8:9], -1, 0
	s_cmp_lg_u32 s11, 1
	s_cselect_b64 s[0:1], -1, 0
	s_abs_i32 s41, s14
	v_cvt_f32_u32_e32 v3, s41
	s_abs_i32 s43, s15
	v_cvt_f32_u32_e32 v4, s43
	s_load_dwordx2 s[26:27], s[4:5], 0x0
	s_load_dwordx2 s[34:35], s[4:5], 0x28
	;; [unrolled: 1-line block ×4, first 2 shown]
	s_load_dword s6, s[2:3], 0x0
	v_rcp_iflag_f32_e32 v3, v3
	s_sub_i32 s2, 0, s41
	v_rcp_iflag_f32_e32 v4, v4
	s_abs_i32 s44, s10
	v_mul_f32_e32 v3, 0x4f7ffffe, v3
	v_cvt_u32_f32_e32 v3, v3
	v_cvt_f32_u32_e32 v6, s44
	v_mul_f32_e32 v4, 0x4f7ffffe, v4
	v_cvt_u32_f32_e32 v4, v4
	v_mul_lo_u32 v5, s2, v3
	v_rcp_iflag_f32_e32 v6, v6
	s_sub_i32 s2, 0, s43
	s_abs_i32 s46, s11
	v_mul_hi_u32 v5, v3, v5
	v_mul_lo_u32 v9, s2, v4
	s_sub_i32 s2, 0, s44
	s_ashr_i32 s48, s10, 31
	v_add_u32_e32 v8, v3, v5
	v_mul_f32_e32 v5, 0x4f7ffffe, v6
	v_cvt_f32_u32_e32 v6, s46
	v_mul_hi_u32 v3, v4, v9
	v_cvt_u32_f32_e32 v5, v5
	s_ashr_i32 s11, s11, 31
	v_rcp_iflag_f32_e32 v6, v6
	v_add_u32_e32 v9, v4, v3
	v_mul_lo_u32 v10, s2, v5
	s_sub_i32 s2, 0, s46
	v_mul_f32_e32 v4, 0x4f7ffffe, v6
	v_cvt_u32_f32_e32 v4, v4
	s_mul_i32 s42, s17, s16
	s_waitcnt lgkmcnt(0)
	s_mul_i32 s16, s6, s7
	s_ashr_i32 s45, s14, 31
	v_readfirstlane_b32 s3, v4
	s_mul_i32 s2, s2, s3
	s_mul_hi_u32 s2, s3, s2
	s_add_i32 s49, s3, s2
	s_mul_hi_u32 s3, s44, s49
	s_mul_i32 s4, s3, s46
	s_sub_i32 s4, s44, s4
	s_ashr_i32 s47, s15, 31
	s_xor_b32 s2, s48, s11
	s_add_i32 s5, s3, 1
	s_sub_i32 s6, s4, s46
	v_mul_hi_u32 v3, v5, v10
	s_cmp_ge_u32 s4, s46
	s_cselect_b32 s3, s5, s3
	s_cselect_b32 s4, s6, s4
	s_add_i32 s5, s3, 1
	v_lshlrev_b64 v[1:2], 1, v[1:2]
	s_cmp_ge_u32 s4, s46
	v_add_u32_e32 v10, v5, v3
	s_cselect_b32 s3, s5, s3
	v_mov_b32_e32 v3, s35
	v_add_co_u32_e32 v1, vcc, s34, v1
	s_mov_b32 s17, 0
	s_xor_b32 s3, s3, s2
	v_addc_co_u32_e32 v2, vcc, v3, v2, vcc
	v_cndmask_b32_e64 v3, 0, 1, s[0:1]
	s_sub_i32 s50, s3, s2
	s_lshl_b64 s[34:35], s[16:17], 1
	s_sub_i32 s14, 0, s14
	s_mov_b64 s[36:37], 0
	v_cmp_ne_u32_e64 s[0:1], 1, v3
	s_branch .LBB9_4
.LBB9_2:                                ;   in Loop: Header=BB9_4 Depth=1
	s_or_b64 exec, exec, s[2:3]
.LBB9_3:                                ;   in Loop: Header=BB9_4 Depth=1
	s_or_b64 exec, exec, s[6:7]
	v_cvt_f16_f32_e32 v3, v11
	v_add_co_u32_e32 v0, vcc, s16, v0
	v_addc_co_u32_e32 v7, vcc, 0, v7, vcc
	global_store_short v[1:2], v3, off
	v_mov_b32_e32 v4, s33
	v_add_co_u32_e32 v3, vcc, s40, v0
	v_addc_co_u32_e32 v4, vcc, v4, v7, vcc
	v_cmp_le_i64_e32 vcc, s[24:25], v[3:4]
	v_mov_b32_e32 v3, s35
	s_or_b64 s[36:37], vcc, s[36:37]
	v_add_co_u32_e32 v1, vcc, s34, v1
	v_addc_co_u32_e32 v2, vcc, v2, v3, vcc
	s_andn2_b64 exec, exec, s[36:37]
	s_cbranch_execz .LBB9_43
.LBB9_4:                                ; =>This Inner Loop Header: Depth=1
	v_add_co_u32_e32 v3, vcc, s40, v0
	v_sub_u32_e32 v4, 0, v3
	v_max_i32_e32 v4, v3, v4
	v_mul_hi_u32 v5, v4, v8
	v_ashrrev_i32_e32 v11, 31, v3
	v_xor_b32_e32 v11, s45, v11
	s_mov_b32 s2, s10
	v_mul_lo_u32 v6, v5, s41
	v_add_u32_e32 v12, 1, v5
	v_sub_u32_e32 v4, v4, v6
	v_cmp_le_u32_e32 vcc, s41, v4
	v_subrev_u32_e32 v6, s41, v4
	v_cndmask_b32_e32 v5, v5, v12, vcc
	v_cndmask_b32_e32 v4, v4, v6, vcc
	v_add_u32_e32 v6, 1, v5
	v_cmp_le_u32_e32 vcc, s41, v4
	v_cndmask_b32_e32 v4, v5, v6, vcc
	v_xor_b32_e32 v4, v4, v11
	v_sub_u32_e32 v12, v4, v11
	v_sub_u32_e32 v4, 0, v12
	v_max_i32_e32 v4, v12, v4
	v_mul_hi_u32 v5, v4, v9
	v_ashrrev_i32_e32 v11, 31, v12
	v_xor_b32_e32 v11, s47, v11
	v_mul_lo_u32 v6, v5, s43
	v_add_u32_e32 v13, 1, v5
	v_sub_u32_e32 v4, v4, v6
	v_cmp_le_u32_e32 vcc, s43, v4
	v_subrev_u32_e32 v6, s43, v4
	v_cndmask_b32_e32 v5, v5, v13, vcc
	v_cndmask_b32_e32 v4, v4, v6, vcc
	v_add_u32_e32 v6, 1, v5
	v_cmp_le_u32_e32 vcc, s43, v4
	v_cndmask_b32_e32 v4, v5, v6, vcc
	v_xor_b32_e32 v4, v4, v11
	v_sub_u32_e32 v13, v4, v11
	v_sub_u32_e32 v4, 0, v13
	v_max_i32_e32 v4, v13, v4
	v_mul_hi_u32 v5, v4, v10
	v_ashrrev_i32_e32 v11, 31, v13
	v_xor_b32_e32 v11, s48, v11
	v_mul_lo_u32 v6, v5, s44
	v_add_u32_e32 v14, 1, v5
	v_sub_u32_e32 v4, v4, v6
	v_cmp_le_u32_e32 vcc, s44, v4
	v_subrev_u32_e32 v6, s44, v4
	v_cndmask_b32_e32 v5, v5, v14, vcc
	v_cndmask_b32_e32 v4, v4, v6, vcc
	v_add_u32_e32 v6, 1, v5
	v_cmp_le_u32_e32 vcc, s44, v4
	v_cndmask_b32_e32 v4, v5, v6, vcc
	v_xor_b32_e32 v4, v4, v11
	v_sub_u32_e32 v14, v4, v11
	v_mul_lo_u32 v4, v14, s10
	s_and_b64 vcc, exec, s[0:1]
	v_sub_u32_e32 v4, v13, v4
	v_ashrrev_i32_e32 v5, 31, v4
	v_mov_b32_e32 v6, v4
	s_cbranch_vccnz .LBB9_6
; %bb.5:                                ;   in Loop: Header=BB9_4 Depth=1
	v_sub_u32_e32 v6, 0, v4
	v_max_i32_e32 v6, v4, v6
	v_mul_hi_u32 v11, v6, s49
	v_xor_b32_e32 v16, s11, v5
	s_mov_b32 s2, s50
	v_mul_lo_u32 v15, v11, s46
	v_add_u32_e32 v17, 1, v11
	v_sub_u32_e32 v6, v6, v15
	v_cmp_le_u32_e32 vcc, s46, v6
	v_subrev_u32_e32 v15, s46, v6
	v_cndmask_b32_e32 v11, v11, v17, vcc
	v_cndmask_b32_e32 v6, v6, v15, vcc
	v_add_u32_e32 v15, 1, v11
	v_cmp_le_u32_e32 vcc, s46, v6
	v_cndmask_b32_e32 v6, v11, v15, vcc
	v_xor_b32_e32 v6, v6, v16
	v_sub_u32_e32 v6, v6, v16
.LBB9_6:                                ;   in Loop: Header=BB9_4 Depth=1
	s_andn2_b64 vcc, exec, s[8:9]
	v_mov_b32_e32 v11, 0
	s_cbranch_vccnz .LBB9_8
; %bb.7:                                ;   in Loop: Header=BB9_4 Depth=1
	v_lshlrev_b64 v[15:16], 1, v[4:5]
	v_mov_b32_e32 v5, s31
	v_add_co_u32_e32 v15, vcc, s30, v15
	v_addc_co_u32_e32 v16, vcc, v5, v16, vcc
	global_load_ushort v5, v[15:16], off
	s_waitcnt vmcnt(0)
	v_cvt_f32_f16_e32 v11, v5
.LBB9_8:                                ;   in Loop: Header=BB9_4 Depth=1
	v_mul_lo_u32 v13, v13, s15
	v_mad_u64_u32 v[5:6], s[2:3], s2, v14, v[6:7]
	v_mad_u64_u32 v[14:15], s[2:3], s14, v12, v[3:4]
	v_sub_u32_e32 v3, v12, v13
	v_mul_lo_u32 v6, v3, s19
	v_mul_lo_u32 v13, v5, s13
	;; [unrolled: 1-line block ×4, first 2 shown]
	v_subrev_u32_e32 v14, s21, v6
	v_add_u32_e32 v5, v14, v13
	v_mul_lo_u32 v15, v5, s12
	v_subrev_u32_e32 v5, s20, v4
	v_cmp_lt_i32_e64 s[2:3], -1, v14
	v_cmp_gt_i32_e32 vcc, s13, v14
	s_and_saveexec_b64 s[38:39], s[2:3]
	s_cbranch_execnz .LBB9_11
; %bb.9:                                ;   in Loop: Header=BB9_4 Depth=1
	s_or_b64 exec, exec, s[38:39]
	v_add_u32_e32 v6, s22, v5
	s_and_saveexec_b64 s[38:39], s[2:3]
	s_cbranch_execnz .LBB9_14
.LBB9_10:                               ;   in Loop: Header=BB9_4 Depth=1
	s_or_b64 exec, exec, s[38:39]
	v_add_u32_e32 v12, s22, v6
	s_and_saveexec_b64 s[6:7], s[2:3]
	s_cbranch_execnz .LBB9_17
	s_branch .LBB9_20
.LBB9_11:                               ;   in Loop: Header=BB9_4 Depth=1
	v_cmp_lt_i32_e64 s[4:5], -1, v5
	v_cmp_gt_i32_e64 s[6:7], s12, v5
	s_and_b64 s[4:5], s[4:5], s[6:7]
	s_and_b64 s[4:5], vcc, s[4:5]
	s_and_saveexec_b64 s[6:7], s[4:5]
	s_cbranch_execz .LBB9_13
; %bb.12:                               ;   in Loop: Header=BB9_4 Depth=1
	v_ashrrev_i32_e32 v4, 31, v3
	v_lshlrev_b64 v[17:18], 1, v[3:4]
	v_mov_b32_e32 v4, s29
	v_add_co_u32_e64 v17, s[4:5], s28, v17
	v_add_u32_e32 v16, v5, v15
	v_addc_co_u32_e64 v18, s[4:5], v4, v18, s[4:5]
	global_load_ushort v4, v[17:18], off
	v_ashrrev_i32_e32 v17, 31, v16
	v_lshlrev_b64 v[16:17], 1, v[16:17]
	v_mov_b32_e32 v6, s27
	v_add_co_u32_e64 v16, s[4:5], s26, v16
	v_addc_co_u32_e64 v17, s[4:5], v6, v17, s[4:5]
	global_load_ushort v6, v[16:17], off
	s_waitcnt vmcnt(0)
	v_fma_mix_f32 v11, v4, v6, v11 op_sel_hi:[1,1,0]
.LBB9_13:                               ;   in Loop: Header=BB9_4 Depth=1
	s_or_b64 exec, exec, s[6:7]
	s_or_b64 exec, exec, s[38:39]
	v_add_u32_e32 v6, s22, v5
	s_and_saveexec_b64 s[38:39], s[2:3]
	s_cbranch_execz .LBB9_10
.LBB9_14:                               ;   in Loop: Header=BB9_4 Depth=1
	v_cmp_lt_i32_e64 s[4:5], -1, v6
	v_cmp_gt_i32_e64 s[6:7], s12, v6
	s_and_b64 s[4:5], s[4:5], s[6:7]
	s_and_b64 s[4:5], vcc, s[4:5]
	s_and_saveexec_b64 s[6:7], s[4:5]
	s_cbranch_execz .LBB9_16
; %bb.15:                               ;   in Loop: Header=BB9_4 Depth=1
	v_ashrrev_i32_e32 v4, 31, v3
	v_lshlrev_b64 v[17:18], 1, v[3:4]
	v_mov_b32_e32 v4, s29
	v_add_co_u32_e64 v17, s[4:5], s28, v17
	v_add_u32_e32 v16, v6, v15
	v_addc_co_u32_e64 v18, s[4:5], v4, v18, s[4:5]
	global_load_ushort v4, v[17:18], off offset:2
	v_ashrrev_i32_e32 v17, 31, v16
	v_lshlrev_b64 v[16:17], 1, v[16:17]
	v_mov_b32_e32 v12, s27
	v_add_co_u32_e64 v16, s[4:5], s26, v16
	v_addc_co_u32_e64 v17, s[4:5], v12, v17, s[4:5]
	global_load_ushort v12, v[16:17], off
	s_waitcnt vmcnt(0)
	v_fma_mix_f32 v11, v4, v12, v11 op_sel_hi:[1,1,0]
.LBB9_16:                               ;   in Loop: Header=BB9_4 Depth=1
	s_or_b64 exec, exec, s[6:7]
	s_or_b64 exec, exec, s[38:39]
	v_add_u32_e32 v12, s22, v6
	s_and_saveexec_b64 s[6:7], s[2:3]
	s_cbranch_execz .LBB9_20
.LBB9_17:                               ;   in Loop: Header=BB9_4 Depth=1
	v_cmp_lt_i32_e64 s[2:3], -1, v12
	v_cmp_gt_i32_e64 s[4:5], s12, v12
	s_and_b64 s[2:3], s[2:3], s[4:5]
	s_and_b64 s[4:5], vcc, s[2:3]
	s_and_saveexec_b64 s[2:3], s[4:5]
	s_cbranch_execz .LBB9_19
; %bb.18:                               ;   in Loop: Header=BB9_4 Depth=1
	v_ashrrev_i32_e32 v4, 31, v3
	v_lshlrev_b64 v[16:17], 1, v[3:4]
	v_mov_b32_e32 v4, s29
	v_add_co_u32_e32 v16, vcc, s28, v16
	v_add_u32_e32 v15, v12, v15
	v_addc_co_u32_e32 v17, vcc, v4, v17, vcc
	global_load_ushort v4, v[16:17], off offset:4
	v_ashrrev_i32_e32 v16, 31, v15
	v_lshlrev_b64 v[15:16], 1, v[15:16]
	v_mov_b32_e32 v17, s27
	v_add_co_u32_e32 v15, vcc, s26, v15
	v_addc_co_u32_e32 v16, vcc, v17, v16, vcc
	global_load_ushort v15, v[15:16], off
	s_waitcnt vmcnt(0)
	v_fma_mix_f32 v11, v4, v15, v11 op_sel_hi:[1,1,0]
.LBB9_19:                               ;   in Loop: Header=BB9_4 Depth=1
	s_or_b64 exec, exec, s[2:3]
.LBB9_20:                               ;   in Loop: Header=BB9_4 Depth=1
	s_or_b64 exec, exec, s[6:7]
	v_add_u32_e32 v14, s23, v14
	v_add_u32_e32 v4, v14, v13
	v_mul_lo_u32 v15, v4, s12
	v_cmp_lt_i32_e64 s[2:3], -1, v14
	v_cmp_gt_i32_e32 vcc, s13, v14
	s_and_saveexec_b64 s[38:39], s[2:3]
	s_cbranch_execnz .LBB9_23
; %bb.21:                               ;   in Loop: Header=BB9_4 Depth=1
	s_or_b64 exec, exec, s[38:39]
	s_and_saveexec_b64 s[38:39], s[2:3]
	s_cbranch_execnz .LBB9_26
.LBB9_22:                               ;   in Loop: Header=BB9_4 Depth=1
	s_or_b64 exec, exec, s[38:39]
	s_and_saveexec_b64 s[6:7], s[2:3]
	s_cbranch_execnz .LBB9_29
	s_branch .LBB9_32
.LBB9_23:                               ;   in Loop: Header=BB9_4 Depth=1
	v_cmp_lt_i32_e64 s[4:5], -1, v5
	v_cmp_gt_i32_e64 s[6:7], s12, v5
	s_and_b64 s[4:5], s[4:5], s[6:7]
	s_and_b64 s[4:5], vcc, s[4:5]
	s_and_saveexec_b64 s[6:7], s[4:5]
	s_cbranch_execz .LBB9_25
; %bb.24:                               ;   in Loop: Header=BB9_4 Depth=1
	v_ashrrev_i32_e32 v4, 31, v3
	v_lshlrev_b64 v[17:18], 1, v[3:4]
	v_mov_b32_e32 v4, s29
	v_add_co_u32_e64 v17, s[4:5], s28, v17
	v_add_u32_e32 v16, v5, v15
	v_addc_co_u32_e64 v18, s[4:5], v4, v18, s[4:5]
	global_load_ushort v4, v[17:18], off offset:6
	v_ashrrev_i32_e32 v17, 31, v16
	v_lshlrev_b64 v[16:17], 1, v[16:17]
	v_mov_b32_e32 v18, s27
	v_add_co_u32_e64 v16, s[4:5], s26, v16
	v_addc_co_u32_e64 v17, s[4:5], v18, v17, s[4:5]
	global_load_ushort v16, v[16:17], off
	s_waitcnt vmcnt(0)
	v_fma_mix_f32 v11, v4, v16, v11 op_sel_hi:[1,1,0]
.LBB9_25:                               ;   in Loop: Header=BB9_4 Depth=1
	s_or_b64 exec, exec, s[6:7]
	s_or_b64 exec, exec, s[38:39]
	s_and_saveexec_b64 s[38:39], s[2:3]
	s_cbranch_execz .LBB9_22
.LBB9_26:                               ;   in Loop: Header=BB9_4 Depth=1
	v_cmp_lt_i32_e64 s[4:5], -1, v6
	v_cmp_gt_i32_e64 s[6:7], s12, v6
	s_and_b64 s[4:5], s[4:5], s[6:7]
	s_and_b64 s[4:5], vcc, s[4:5]
	s_and_saveexec_b64 s[6:7], s[4:5]
	s_cbranch_execz .LBB9_28
; %bb.27:                               ;   in Loop: Header=BB9_4 Depth=1
	v_ashrrev_i32_e32 v4, 31, v3
	v_lshlrev_b64 v[17:18], 1, v[3:4]
	v_mov_b32_e32 v4, s29
	v_add_co_u32_e64 v17, s[4:5], s28, v17
	v_add_u32_e32 v16, v6, v15
	v_addc_co_u32_e64 v18, s[4:5], v4, v18, s[4:5]
	global_load_ushort v4, v[17:18], off offset:8
	v_ashrrev_i32_e32 v17, 31, v16
	v_lshlrev_b64 v[16:17], 1, v[16:17]
	v_mov_b32_e32 v18, s27
	v_add_co_u32_e64 v16, s[4:5], s26, v16
	v_addc_co_u32_e64 v17, s[4:5], v18, v17, s[4:5]
	global_load_ushort v16, v[16:17], off
	s_waitcnt vmcnt(0)
	v_fma_mix_f32 v11, v4, v16, v11 op_sel_hi:[1,1,0]
.LBB9_28:                               ;   in Loop: Header=BB9_4 Depth=1
	s_or_b64 exec, exec, s[6:7]
	s_or_b64 exec, exec, s[38:39]
	s_and_saveexec_b64 s[6:7], s[2:3]
	s_cbranch_execz .LBB9_32
.LBB9_29:                               ;   in Loop: Header=BB9_4 Depth=1
	v_cmp_lt_i32_e64 s[2:3], -1, v12
	v_cmp_gt_i32_e64 s[4:5], s12, v12
	s_and_b64 s[2:3], s[2:3], s[4:5]
	s_and_b64 s[4:5], vcc, s[2:3]
	s_and_saveexec_b64 s[2:3], s[4:5]
	s_cbranch_execz .LBB9_31
; %bb.30:                               ;   in Loop: Header=BB9_4 Depth=1
	v_ashrrev_i32_e32 v4, 31, v3
	v_lshlrev_b64 v[16:17], 1, v[3:4]
	v_mov_b32_e32 v4, s29
	v_add_co_u32_e32 v16, vcc, s28, v16
	v_add_u32_e32 v15, v12, v15
	v_addc_co_u32_e32 v17, vcc, v4, v17, vcc
	global_load_ushort v4, v[16:17], off offset:10
	v_ashrrev_i32_e32 v16, 31, v15
	v_lshlrev_b64 v[15:16], 1, v[15:16]
	v_mov_b32_e32 v17, s27
	v_add_co_u32_e32 v15, vcc, s26, v15
	v_addc_co_u32_e32 v16, vcc, v17, v16, vcc
	global_load_ushort v15, v[15:16], off
	s_waitcnt vmcnt(0)
	v_fma_mix_f32 v11, v4, v15, v11 op_sel_hi:[1,1,0]
.LBB9_31:                               ;   in Loop: Header=BB9_4 Depth=1
	s_or_b64 exec, exec, s[2:3]
.LBB9_32:                               ;   in Loop: Header=BB9_4 Depth=1
	s_or_b64 exec, exec, s[6:7]
	v_add_u32_e32 v4, s23, v14
	v_add_u32_e32 v13, v4, v13
	v_mul_lo_u32 v13, v13, s12
	v_cmp_lt_i32_e64 s[2:3], -1, v4
	v_cmp_gt_i32_e32 vcc, s13, v4
	s_and_saveexec_b64 s[38:39], s[2:3]
	s_cbranch_execnz .LBB9_35
; %bb.33:                               ;   in Loop: Header=BB9_4 Depth=1
	s_or_b64 exec, exec, s[38:39]
	s_and_saveexec_b64 s[38:39], s[2:3]
	s_cbranch_execnz .LBB9_38
.LBB9_34:                               ;   in Loop: Header=BB9_4 Depth=1
	s_or_b64 exec, exec, s[38:39]
	s_and_saveexec_b64 s[6:7], s[2:3]
	s_cbranch_execz .LBB9_3
	s_branch .LBB9_41
.LBB9_35:                               ;   in Loop: Header=BB9_4 Depth=1
	v_cmp_lt_i32_e64 s[4:5], -1, v5
	v_cmp_gt_i32_e64 s[6:7], s12, v5
	s_and_b64 s[4:5], s[4:5], s[6:7]
	s_and_b64 s[4:5], vcc, s[4:5]
	s_and_saveexec_b64 s[6:7], s[4:5]
	s_cbranch_execz .LBB9_37
; %bb.36:                               ;   in Loop: Header=BB9_4 Depth=1
	v_ashrrev_i32_e32 v4, 31, v3
	v_add_u32_e32 v14, v5, v13
	v_lshlrev_b64 v[4:5], 1, v[3:4]
	v_mov_b32_e32 v15, s29
	v_add_co_u32_e64 v4, s[4:5], s28, v4
	v_addc_co_u32_e64 v5, s[4:5], v15, v5, s[4:5]
	v_ashrrev_i32_e32 v15, 31, v14
	global_load_ushort v16, v[4:5], off offset:12
	v_lshlrev_b64 v[4:5], 1, v[14:15]
	v_mov_b32_e32 v14, s27
	v_add_co_u32_e64 v4, s[4:5], s26, v4
	v_addc_co_u32_e64 v5, s[4:5], v14, v5, s[4:5]
	global_load_ushort v4, v[4:5], off
	s_waitcnt vmcnt(0)
	v_fma_mix_f32 v11, v16, v4, v11 op_sel_hi:[1,1,0]
.LBB9_37:                               ;   in Loop: Header=BB9_4 Depth=1
	s_or_b64 exec, exec, s[6:7]
	s_or_b64 exec, exec, s[38:39]
	s_and_saveexec_b64 s[38:39], s[2:3]
	s_cbranch_execz .LBB9_34
.LBB9_38:                               ;   in Loop: Header=BB9_4 Depth=1
	v_cmp_lt_i32_e64 s[4:5], -1, v6
	v_cmp_gt_i32_e64 s[6:7], s12, v6
	s_and_b64 s[4:5], s[4:5], s[6:7]
	s_and_b64 s[4:5], vcc, s[4:5]
	s_and_saveexec_b64 s[6:7], s[4:5]
	s_cbranch_execz .LBB9_40
; %bb.39:                               ;   in Loop: Header=BB9_4 Depth=1
	v_ashrrev_i32_e32 v4, 31, v3
	v_lshlrev_b64 v[14:15], 1, v[3:4]
	v_add_u32_e32 v5, v6, v13
	v_mov_b32_e32 v4, s29
	v_add_co_u32_e64 v14, s[4:5], s28, v14
	v_ashrrev_i32_e32 v6, 31, v5
	v_addc_co_u32_e64 v15, s[4:5], v4, v15, s[4:5]
	v_lshlrev_b64 v[4:5], 1, v[5:6]
	v_mov_b32_e32 v6, s27
	v_add_co_u32_e64 v4, s[4:5], s26, v4
	v_addc_co_u32_e64 v5, s[4:5], v6, v5, s[4:5]
	global_load_ushort v14, v[14:15], off offset:14
	s_nop 0
	global_load_ushort v4, v[4:5], off
	s_waitcnt vmcnt(0)
	v_fma_mix_f32 v11, v14, v4, v11 op_sel_hi:[1,1,0]
.LBB9_40:                               ;   in Loop: Header=BB9_4 Depth=1
	s_or_b64 exec, exec, s[6:7]
	s_or_b64 exec, exec, s[38:39]
	s_and_saveexec_b64 s[6:7], s[2:3]
	s_cbranch_execz .LBB9_3
.LBB9_41:                               ;   in Loop: Header=BB9_4 Depth=1
	v_cmp_lt_i32_e64 s[2:3], -1, v12
	v_cmp_gt_i32_e64 s[4:5], s12, v12
	s_and_b64 s[2:3], s[2:3], s[4:5]
	s_and_b64 s[4:5], vcc, s[2:3]
	s_and_saveexec_b64 s[2:3], s[4:5]
	s_cbranch_execz .LBB9_2
; %bb.42:                               ;   in Loop: Header=BB9_4 Depth=1
	v_ashrrev_i32_e32 v4, 31, v3
	v_lshlrev_b64 v[3:4], 1, v[3:4]
	v_add_u32_e32 v5, v12, v13
	v_mov_b32_e32 v6, s29
	v_add_co_u32_e32 v3, vcc, s28, v3
	v_addc_co_u32_e32 v4, vcc, v6, v4, vcc
	v_ashrrev_i32_e32 v6, 31, v5
	global_load_ushort v12, v[3:4], off offset:16
	v_lshlrev_b64 v[3:4], 1, v[5:6]
	v_mov_b32_e32 v5, s27
	v_add_co_u32_e32 v3, vcc, s26, v3
	v_addc_co_u32_e32 v4, vcc, v5, v4, vcc
	global_load_ushort v3, v[3:4], off
	s_waitcnt vmcnt(0)
	v_fma_mix_f32 v11, v12, v3, v11 op_sel_hi:[1,1,0]
	s_branch .LBB9_2
.LBB9_43:
	s_endpgm
	.section	.rodata,"a",@progbits
	.p2align	6, 0x0
	.amdhsa_kernel _ZN2at6native12_GLOBAL__N_131conv_depthwise2d_forward_kernelILi3EN3c104HalfEiEEvN5torch10headeronly6detail27GenericPackedTensorAccessorINS7_14TensorAccessorINS3_8ArrayRefIlEEKT0_Lm3ENS6_16DefaultPtrTraitsEiEENS_6detail16IndexBoundsCheckILm4EiEESD_Lm4ESE_iEENS8_INS9_ISB_SC_Lm3ESE_iEESI_SC_Lm4ESE_iEESJ_NS8_INS9_ISB_SD_Lm0ESE_iEENSH_ILm1EiEESD_Lm1ESE_iEEbT1_iiiiiiiiiiiiii
		.amdhsa_group_segment_fixed_size 0
		.amdhsa_private_segment_fixed_size 0
		.amdhsa_kernarg_size 456
		.amdhsa_user_sgpr_count 6
		.amdhsa_user_sgpr_private_segment_buffer 1
		.amdhsa_user_sgpr_dispatch_ptr 0
		.amdhsa_user_sgpr_queue_ptr 0
		.amdhsa_user_sgpr_kernarg_segment_ptr 1
		.amdhsa_user_sgpr_dispatch_id 0
		.amdhsa_user_sgpr_flat_scratch_init 0
		.amdhsa_user_sgpr_private_segment_size 0
		.amdhsa_uses_dynamic_stack 0
		.amdhsa_system_sgpr_private_segment_wavefront_offset 0
		.amdhsa_system_sgpr_workgroup_id_x 1
		.amdhsa_system_sgpr_workgroup_id_y 0
		.amdhsa_system_sgpr_workgroup_id_z 0
		.amdhsa_system_sgpr_workgroup_info 0
		.amdhsa_system_vgpr_workitem_id 0
		.amdhsa_next_free_vgpr 19
		.amdhsa_next_free_sgpr 51
		.amdhsa_reserve_vcc 1
		.amdhsa_reserve_flat_scratch 0
		.amdhsa_float_round_mode_32 0
		.amdhsa_float_round_mode_16_64 0
		.amdhsa_float_denorm_mode_32 3
		.amdhsa_float_denorm_mode_16_64 3
		.amdhsa_dx10_clamp 1
		.amdhsa_ieee_mode 1
		.amdhsa_fp16_overflow 0
		.amdhsa_exception_fp_ieee_invalid_op 0
		.amdhsa_exception_fp_denorm_src 0
		.amdhsa_exception_fp_ieee_div_zero 0
		.amdhsa_exception_fp_ieee_overflow 0
		.amdhsa_exception_fp_ieee_underflow 0
		.amdhsa_exception_fp_ieee_inexact 0
		.amdhsa_exception_int_div_zero 0
	.end_amdhsa_kernel
	.section	.text._ZN2at6native12_GLOBAL__N_131conv_depthwise2d_forward_kernelILi3EN3c104HalfEiEEvN5torch10headeronly6detail27GenericPackedTensorAccessorINS7_14TensorAccessorINS3_8ArrayRefIlEEKT0_Lm3ENS6_16DefaultPtrTraitsEiEENS_6detail16IndexBoundsCheckILm4EiEESD_Lm4ESE_iEENS8_INS9_ISB_SC_Lm3ESE_iEESI_SC_Lm4ESE_iEESJ_NS8_INS9_ISB_SD_Lm0ESE_iEENSH_ILm1EiEESD_Lm1ESE_iEEbT1_iiiiiiiiiiiiii,"axG",@progbits,_ZN2at6native12_GLOBAL__N_131conv_depthwise2d_forward_kernelILi3EN3c104HalfEiEEvN5torch10headeronly6detail27GenericPackedTensorAccessorINS7_14TensorAccessorINS3_8ArrayRefIlEEKT0_Lm3ENS6_16DefaultPtrTraitsEiEENS_6detail16IndexBoundsCheckILm4EiEESD_Lm4ESE_iEENS8_INS9_ISB_SC_Lm3ESE_iEESI_SC_Lm4ESE_iEESJ_NS8_INS9_ISB_SD_Lm0ESE_iEENSH_ILm1EiEESD_Lm1ESE_iEEbT1_iiiiiiiiiiiiii,comdat
.Lfunc_end9:
	.size	_ZN2at6native12_GLOBAL__N_131conv_depthwise2d_forward_kernelILi3EN3c104HalfEiEEvN5torch10headeronly6detail27GenericPackedTensorAccessorINS7_14TensorAccessorINS3_8ArrayRefIlEEKT0_Lm3ENS6_16DefaultPtrTraitsEiEENS_6detail16IndexBoundsCheckILm4EiEESD_Lm4ESE_iEENS8_INS9_ISB_SC_Lm3ESE_iEESI_SC_Lm4ESE_iEESJ_NS8_INS9_ISB_SD_Lm0ESE_iEENSH_ILm1EiEESD_Lm1ESE_iEEbT1_iiiiiiiiiiiiii, .Lfunc_end9-_ZN2at6native12_GLOBAL__N_131conv_depthwise2d_forward_kernelILi3EN3c104HalfEiEEvN5torch10headeronly6detail27GenericPackedTensorAccessorINS7_14TensorAccessorINS3_8ArrayRefIlEEKT0_Lm3ENS6_16DefaultPtrTraitsEiEENS_6detail16IndexBoundsCheckILm4EiEESD_Lm4ESE_iEENS8_INS9_ISB_SC_Lm3ESE_iEESI_SC_Lm4ESE_iEESJ_NS8_INS9_ISB_SD_Lm0ESE_iEENSH_ILm1EiEESD_Lm1ESE_iEEbT1_iiiiiiiiiiiiii
                                        ; -- End function
	.set _ZN2at6native12_GLOBAL__N_131conv_depthwise2d_forward_kernelILi3EN3c104HalfEiEEvN5torch10headeronly6detail27GenericPackedTensorAccessorINS7_14TensorAccessorINS3_8ArrayRefIlEEKT0_Lm3ENS6_16DefaultPtrTraitsEiEENS_6detail16IndexBoundsCheckILm4EiEESD_Lm4ESE_iEENS8_INS9_ISB_SC_Lm3ESE_iEESI_SC_Lm4ESE_iEESJ_NS8_INS9_ISB_SD_Lm0ESE_iEENSH_ILm1EiEESD_Lm1ESE_iEEbT1_iiiiiiiiiiiiii.num_vgpr, 19
	.set _ZN2at6native12_GLOBAL__N_131conv_depthwise2d_forward_kernelILi3EN3c104HalfEiEEvN5torch10headeronly6detail27GenericPackedTensorAccessorINS7_14TensorAccessorINS3_8ArrayRefIlEEKT0_Lm3ENS6_16DefaultPtrTraitsEiEENS_6detail16IndexBoundsCheckILm4EiEESD_Lm4ESE_iEENS8_INS9_ISB_SC_Lm3ESE_iEESI_SC_Lm4ESE_iEESJ_NS8_INS9_ISB_SD_Lm0ESE_iEENSH_ILm1EiEESD_Lm1ESE_iEEbT1_iiiiiiiiiiiiii.num_agpr, 0
	.set _ZN2at6native12_GLOBAL__N_131conv_depthwise2d_forward_kernelILi3EN3c104HalfEiEEvN5torch10headeronly6detail27GenericPackedTensorAccessorINS7_14TensorAccessorINS3_8ArrayRefIlEEKT0_Lm3ENS6_16DefaultPtrTraitsEiEENS_6detail16IndexBoundsCheckILm4EiEESD_Lm4ESE_iEENS8_INS9_ISB_SC_Lm3ESE_iEESI_SC_Lm4ESE_iEESJ_NS8_INS9_ISB_SD_Lm0ESE_iEENSH_ILm1EiEESD_Lm1ESE_iEEbT1_iiiiiiiiiiiiii.numbered_sgpr, 51
	.set _ZN2at6native12_GLOBAL__N_131conv_depthwise2d_forward_kernelILi3EN3c104HalfEiEEvN5torch10headeronly6detail27GenericPackedTensorAccessorINS7_14TensorAccessorINS3_8ArrayRefIlEEKT0_Lm3ENS6_16DefaultPtrTraitsEiEENS_6detail16IndexBoundsCheckILm4EiEESD_Lm4ESE_iEENS8_INS9_ISB_SC_Lm3ESE_iEESI_SC_Lm4ESE_iEESJ_NS8_INS9_ISB_SD_Lm0ESE_iEENSH_ILm1EiEESD_Lm1ESE_iEEbT1_iiiiiiiiiiiiii.num_named_barrier, 0
	.set _ZN2at6native12_GLOBAL__N_131conv_depthwise2d_forward_kernelILi3EN3c104HalfEiEEvN5torch10headeronly6detail27GenericPackedTensorAccessorINS7_14TensorAccessorINS3_8ArrayRefIlEEKT0_Lm3ENS6_16DefaultPtrTraitsEiEENS_6detail16IndexBoundsCheckILm4EiEESD_Lm4ESE_iEENS8_INS9_ISB_SC_Lm3ESE_iEESI_SC_Lm4ESE_iEESJ_NS8_INS9_ISB_SD_Lm0ESE_iEENSH_ILm1EiEESD_Lm1ESE_iEEbT1_iiiiiiiiiiiiii.private_seg_size, 0
	.set _ZN2at6native12_GLOBAL__N_131conv_depthwise2d_forward_kernelILi3EN3c104HalfEiEEvN5torch10headeronly6detail27GenericPackedTensorAccessorINS7_14TensorAccessorINS3_8ArrayRefIlEEKT0_Lm3ENS6_16DefaultPtrTraitsEiEENS_6detail16IndexBoundsCheckILm4EiEESD_Lm4ESE_iEENS8_INS9_ISB_SC_Lm3ESE_iEESI_SC_Lm4ESE_iEESJ_NS8_INS9_ISB_SD_Lm0ESE_iEENSH_ILm1EiEESD_Lm1ESE_iEEbT1_iiiiiiiiiiiiii.uses_vcc, 1
	.set _ZN2at6native12_GLOBAL__N_131conv_depthwise2d_forward_kernelILi3EN3c104HalfEiEEvN5torch10headeronly6detail27GenericPackedTensorAccessorINS7_14TensorAccessorINS3_8ArrayRefIlEEKT0_Lm3ENS6_16DefaultPtrTraitsEiEENS_6detail16IndexBoundsCheckILm4EiEESD_Lm4ESE_iEENS8_INS9_ISB_SC_Lm3ESE_iEESI_SC_Lm4ESE_iEESJ_NS8_INS9_ISB_SD_Lm0ESE_iEENSH_ILm1EiEESD_Lm1ESE_iEEbT1_iiiiiiiiiiiiii.uses_flat_scratch, 0
	.set _ZN2at6native12_GLOBAL__N_131conv_depthwise2d_forward_kernelILi3EN3c104HalfEiEEvN5torch10headeronly6detail27GenericPackedTensorAccessorINS7_14TensorAccessorINS3_8ArrayRefIlEEKT0_Lm3ENS6_16DefaultPtrTraitsEiEENS_6detail16IndexBoundsCheckILm4EiEESD_Lm4ESE_iEENS8_INS9_ISB_SC_Lm3ESE_iEESI_SC_Lm4ESE_iEESJ_NS8_INS9_ISB_SD_Lm0ESE_iEENSH_ILm1EiEESD_Lm1ESE_iEEbT1_iiiiiiiiiiiiii.has_dyn_sized_stack, 0
	.set _ZN2at6native12_GLOBAL__N_131conv_depthwise2d_forward_kernelILi3EN3c104HalfEiEEvN5torch10headeronly6detail27GenericPackedTensorAccessorINS7_14TensorAccessorINS3_8ArrayRefIlEEKT0_Lm3ENS6_16DefaultPtrTraitsEiEENS_6detail16IndexBoundsCheckILm4EiEESD_Lm4ESE_iEENS8_INS9_ISB_SC_Lm3ESE_iEESI_SC_Lm4ESE_iEESJ_NS8_INS9_ISB_SD_Lm0ESE_iEENSH_ILm1EiEESD_Lm1ESE_iEEbT1_iiiiiiiiiiiiii.has_recursion, 0
	.set _ZN2at6native12_GLOBAL__N_131conv_depthwise2d_forward_kernelILi3EN3c104HalfEiEEvN5torch10headeronly6detail27GenericPackedTensorAccessorINS7_14TensorAccessorINS3_8ArrayRefIlEEKT0_Lm3ENS6_16DefaultPtrTraitsEiEENS_6detail16IndexBoundsCheckILm4EiEESD_Lm4ESE_iEENS8_INS9_ISB_SC_Lm3ESE_iEESI_SC_Lm4ESE_iEESJ_NS8_INS9_ISB_SD_Lm0ESE_iEENSH_ILm1EiEESD_Lm1ESE_iEEbT1_iiiiiiiiiiiiii.has_indirect_call, 0
	.section	.AMDGPU.csdata,"",@progbits
; Kernel info:
; codeLenInByte = 2424
; TotalNumSgprs: 55
; NumVgprs: 19
; ScratchSize: 0
; MemoryBound: 0
; FloatMode: 240
; IeeeMode: 1
; LDSByteSize: 0 bytes/workgroup (compile time only)
; SGPRBlocks: 6
; VGPRBlocks: 4
; NumSGPRsForWavesPerEU: 55
; NumVGPRsForWavesPerEU: 19
; Occupancy: 10
; WaveLimiterHint : 0
; COMPUTE_PGM_RSRC2:SCRATCH_EN: 0
; COMPUTE_PGM_RSRC2:USER_SGPR: 6
; COMPUTE_PGM_RSRC2:TRAP_HANDLER: 0
; COMPUTE_PGM_RSRC2:TGID_X_EN: 1
; COMPUTE_PGM_RSRC2:TGID_Y_EN: 0
; COMPUTE_PGM_RSRC2:TGID_Z_EN: 0
; COMPUTE_PGM_RSRC2:TIDIG_COMP_CNT: 0
	.section	.text._ZN2at6native12_GLOBAL__N_131conv_depthwise2d_forward_kernelILi1EN3c104HalfEiEEvN5torch10headeronly6detail27GenericPackedTensorAccessorINS7_14TensorAccessorINS3_8ArrayRefIlEEKT0_Lm3ENS6_16DefaultPtrTraitsEiEENS_6detail16IndexBoundsCheckILm4EiEESD_Lm4ESE_iEENS8_INS9_ISB_SC_Lm3ESE_iEESI_SC_Lm4ESE_iEESJ_NS8_INS9_ISB_SD_Lm0ESE_iEENSH_ILm1EiEESD_Lm1ESE_iEEbT1_iiiiiiiiiiiiii,"axG",@progbits,_ZN2at6native12_GLOBAL__N_131conv_depthwise2d_forward_kernelILi1EN3c104HalfEiEEvN5torch10headeronly6detail27GenericPackedTensorAccessorINS7_14TensorAccessorINS3_8ArrayRefIlEEKT0_Lm3ENS6_16DefaultPtrTraitsEiEENS_6detail16IndexBoundsCheckILm4EiEESD_Lm4ESE_iEENS8_INS9_ISB_SC_Lm3ESE_iEESI_SC_Lm4ESE_iEESJ_NS8_INS9_ISB_SD_Lm0ESE_iEENSH_ILm1EiEESD_Lm1ESE_iEEbT1_iiiiiiiiiiiiii,comdat
	.globl	_ZN2at6native12_GLOBAL__N_131conv_depthwise2d_forward_kernelILi1EN3c104HalfEiEEvN5torch10headeronly6detail27GenericPackedTensorAccessorINS7_14TensorAccessorINS3_8ArrayRefIlEEKT0_Lm3ENS6_16DefaultPtrTraitsEiEENS_6detail16IndexBoundsCheckILm4EiEESD_Lm4ESE_iEENS8_INS9_ISB_SC_Lm3ESE_iEESI_SC_Lm4ESE_iEESJ_NS8_INS9_ISB_SD_Lm0ESE_iEENSH_ILm1EiEESD_Lm1ESE_iEEbT1_iiiiiiiiiiiiii ; -- Begin function _ZN2at6native12_GLOBAL__N_131conv_depthwise2d_forward_kernelILi1EN3c104HalfEiEEvN5torch10headeronly6detail27GenericPackedTensorAccessorINS7_14TensorAccessorINS3_8ArrayRefIlEEKT0_Lm3ENS6_16DefaultPtrTraitsEiEENS_6detail16IndexBoundsCheckILm4EiEESD_Lm4ESE_iEENS8_INS9_ISB_SC_Lm3ESE_iEESI_SC_Lm4ESE_iEESJ_NS8_INS9_ISB_SD_Lm0ESE_iEENSH_ILm1EiEESD_Lm1ESE_iEEbT1_iiiiiiiiiiiiii
	.p2align	8
	.type	_ZN2at6native12_GLOBAL__N_131conv_depthwise2d_forward_kernelILi1EN3c104HalfEiEEvN5torch10headeronly6detail27GenericPackedTensorAccessorINS7_14TensorAccessorINS3_8ArrayRefIlEEKT0_Lm3ENS6_16DefaultPtrTraitsEiEENS_6detail16IndexBoundsCheckILm4EiEESD_Lm4ESE_iEENS8_INS9_ISB_SC_Lm3ESE_iEESI_SC_Lm4ESE_iEESJ_NS8_INS9_ISB_SD_Lm0ESE_iEENSH_ILm1EiEESD_Lm1ESE_iEEbT1_iiiiiiiiiiiiii,@function
_ZN2at6native12_GLOBAL__N_131conv_depthwise2d_forward_kernelILi1EN3c104HalfEiEEvN5torch10headeronly6detail27GenericPackedTensorAccessorINS7_14TensorAccessorINS3_8ArrayRefIlEEKT0_Lm3ENS6_16DefaultPtrTraitsEiEENS_6detail16IndexBoundsCheckILm4EiEESD_Lm4ESE_iEENS8_INS9_ISB_SC_Lm3ESE_iEESI_SC_Lm4ESE_iEESJ_NS8_INS9_ISB_SD_Lm0ESE_iEENSH_ILm1EiEESD_Lm1ESE_iEEbT1_iiiiiiiiiiiiii: ; @_ZN2at6native12_GLOBAL__N_131conv_depthwise2d_forward_kernelILi1EN3c104HalfEiEEvN5torch10headeronly6detail27GenericPackedTensorAccessorINS7_14TensorAccessorINS3_8ArrayRefIlEEKT0_Lm3ENS6_16DefaultPtrTraitsEiEENS_6detail16IndexBoundsCheckILm4EiEESD_Lm4ESE_iEENS8_INS9_ISB_SC_Lm3ESE_iEESI_SC_Lm4ESE_iEESJ_NS8_INS9_ISB_SD_Lm0ESE_iEENSH_ILm1EiEESD_Lm1ESE_iEEbT1_iiiiiiiiiiiiii
; %bb.0:
	s_load_dword s0, s[4:5], 0xd4
	s_load_dwordx8 s[8:15], s[4:5], 0x88
	s_add_u32 s2, s4, 0xc8
	s_addc_u32 s3, s5, 0
	v_mov_b32_e32 v7, 0
	s_waitcnt lgkmcnt(0)
	s_and_b32 s7, s0, 0xffff
	s_mul_hi_u32 s33, s7, s6
	s_mul_i32 s36, s7, s6
	v_mov_b32_e32 v2, s33
	v_add_co_u32_e32 v1, vcc, s36, v0
	v_addc_co_u32_e32 v2, vcc, 0, v2, vcc
	s_ashr_i32 s21, s9, 31
	s_mov_b32 s20, s9
	v_cmp_gt_i64_e32 vcc, s[20:21], v[1:2]
	s_and_saveexec_b64 s[0:1], vcc
	s_cbranch_execz .LBB10_9
; %bb.1:
	s_bitcmp1_b32 s8, 0
	s_cselect_b64 s[8:9], -1, 0
	s_cmp_lg_u32 s11, 1
	s_cselect_b64 s[0:1], -1, 0
	s_abs_i32 s37, s14
	v_cvt_f32_u32_e32 v3, s37
	s_abs_i32 s39, s15
	v_cvt_f32_u32_e32 v4, s39
	s_load_dwordx4 s[16:19], s[4:5], 0xa8
	s_load_dwordx2 s[22:23], s[4:5], 0xb8
	v_rcp_iflag_f32_e32 v3, v3
	s_load_dwordx2 s[24:25], s[4:5], 0x0
	s_load_dwordx2 s[30:31], s[4:5], 0x28
	;; [unrolled: 1-line block ×4, first 2 shown]
	s_load_dword s6, s[2:3], 0x0
	v_rcp_iflag_f32_e32 v4, v4
	s_sub_i32 s2, 0, s37
	v_mul_f32_e32 v3, 0x4f7ffffe, v3
	v_cvt_u32_f32_e32 v3, v3
	s_abs_i32 s40, s10
	v_cvt_f32_u32_e32 v6, s40
	v_mul_f32_e32 v4, 0x4f7ffffe, v4
	v_mul_lo_u32 v5, s2, v3
	v_cvt_u32_f32_e32 v4, v4
	v_rcp_iflag_f32_e32 v6, v6
	s_sub_i32 s2, 0, s39
	v_mul_hi_u32 v5, v3, v5
	s_abs_i32 s42, s11
	v_mul_lo_u32 v9, s2, v4
	s_sub_i32 s2, 0, s40
	v_add_u32_e32 v8, v3, v5
	v_mul_f32_e32 v5, 0x4f7ffffe, v6
	v_cvt_f32_u32_e32 v6, s42
	v_mul_hi_u32 v3, v4, v9
	v_cvt_u32_f32_e32 v5, v5
	s_ashr_i32 s44, s10, 31
	v_rcp_iflag_f32_e32 v6, v6
	v_add_u32_e32 v9, v4, v3
	v_mul_lo_u32 v10, s2, v5
	s_sub_i32 s2, 0, s42
	v_mul_f32_e32 v4, 0x4f7ffffe, v6
	v_cvt_u32_f32_e32 v4, v4
	s_ashr_i32 s11, s11, 31
	s_waitcnt lgkmcnt(0)
	s_mul_i32 s38, s17, s16
	s_mul_i32 s16, s6, s7
	v_readfirstlane_b32 s3, v4
	s_mul_i32 s2, s2, s3
	s_mul_hi_u32 s2, s3, s2
	s_add_i32 s45, s3, s2
	s_mul_hi_u32 s3, s40, s45
	s_mul_i32 s4, s3, s42
	s_sub_i32 s4, s40, s4
	s_ashr_i32 s41, s14, 31
	s_ashr_i32 s43, s15, 31
	s_xor_b32 s2, s44, s11
	s_add_i32 s5, s3, 1
	s_sub_i32 s6, s4, s42
	v_mul_hi_u32 v3, v5, v10
	s_cmp_ge_u32 s4, s42
	s_cselect_b32 s3, s5, s3
	s_cselect_b32 s4, s6, s4
	s_add_i32 s5, s3, 1
	v_lshlrev_b64 v[1:2], 1, v[1:2]
	s_cmp_ge_u32 s4, s42
	v_add_u32_e32 v10, v5, v3
	s_cselect_b32 s3, s5, s3
	v_mov_b32_e32 v3, s31
	v_add_co_u32_e32 v1, vcc, s30, v1
	s_mov_b32 s17, 0
	s_xor_b32 s3, s3, s2
	v_addc_co_u32_e32 v2, vcc, v3, v2, vcc
	v_cndmask_b32_e64 v3, 0, 1, s[0:1]
	s_sub_i32 s46, s3, s2
	s_lshl_b64 s[30:31], s[16:17], 1
	s_sub_i32 s14, 0, s14
	s_mov_b64 s[34:35], 0
	v_cmp_ne_u32_e64 s[0:1], 1, v3
	s_branch .LBB10_3
.LBB10_2:                               ;   in Loop: Header=BB10_3 Depth=1
	s_or_b64 exec, exec, s[2:3]
	v_cvt_f16_f32_e32 v3, v14
	v_add_co_u32_e32 v0, vcc, s16, v0
	v_addc_co_u32_e32 v7, vcc, 0, v7, vcc
	global_store_short v[1:2], v3, off
	v_mov_b32_e32 v4, s33
	v_add_co_u32_e32 v3, vcc, s36, v0
	v_addc_co_u32_e32 v4, vcc, v4, v7, vcc
	v_cmp_le_i64_e32 vcc, s[20:21], v[3:4]
	v_mov_b32_e32 v3, s31
	s_or_b64 s[34:35], vcc, s[34:35]
	v_add_co_u32_e32 v1, vcc, s30, v1
	v_addc_co_u32_e32 v2, vcc, v2, v3, vcc
	s_andn2_b64 exec, exec, s[34:35]
	s_cbranch_execz .LBB10_9
.LBB10_3:                               ; =>This Inner Loop Header: Depth=1
	v_add_co_u32_e32 v3, vcc, s36, v0
	v_sub_u32_e32 v4, 0, v3
	v_max_i32_e32 v4, v3, v4
	v_mul_hi_u32 v5, v4, v8
	v_ashrrev_i32_e32 v11, 31, v3
	v_xor_b32_e32 v11, s41, v11
	s_mov_b32 s17, s10
	v_mul_lo_u32 v6, v5, s37
	v_add_u32_e32 v12, 1, v5
	v_sub_u32_e32 v4, v4, v6
	v_cmp_le_u32_e32 vcc, s37, v4
	v_subrev_u32_e32 v6, s37, v4
	v_cndmask_b32_e32 v5, v5, v12, vcc
	v_cndmask_b32_e32 v4, v4, v6, vcc
	v_add_u32_e32 v6, 1, v5
	v_cmp_le_u32_e32 vcc, s37, v4
	v_cndmask_b32_e32 v4, v5, v6, vcc
	v_xor_b32_e32 v4, v4, v11
	v_sub_u32_e32 v11, v4, v11
	v_sub_u32_e32 v4, 0, v11
	v_max_i32_e32 v4, v11, v4
	v_mul_hi_u32 v5, v4, v9
	v_ashrrev_i32_e32 v12, 31, v11
	v_xor_b32_e32 v12, s43, v12
	v_mul_lo_u32 v6, v5, s39
	v_add_u32_e32 v13, 1, v5
	v_sub_u32_e32 v4, v4, v6
	v_cmp_le_u32_e32 vcc, s39, v4
	v_subrev_u32_e32 v6, s39, v4
	v_cndmask_b32_e32 v5, v5, v13, vcc
	v_cndmask_b32_e32 v4, v4, v6, vcc
	v_add_u32_e32 v6, 1, v5
	v_cmp_le_u32_e32 vcc, s39, v4
	v_cndmask_b32_e32 v4, v5, v6, vcc
	v_xor_b32_e32 v4, v4, v12
	v_sub_u32_e32 v13, v4, v12
	v_sub_u32_e32 v4, 0, v13
	v_max_i32_e32 v4, v13, v4
	v_mul_hi_u32 v5, v4, v10
	v_ashrrev_i32_e32 v12, 31, v13
	v_xor_b32_e32 v12, s44, v12
	v_mul_lo_u32 v6, v5, s40
	v_add_u32_e32 v14, 1, v5
	v_sub_u32_e32 v4, v4, v6
	v_cmp_le_u32_e32 vcc, s40, v4
	v_subrev_u32_e32 v6, s40, v4
	v_cndmask_b32_e32 v5, v5, v14, vcc
	v_cndmask_b32_e32 v4, v4, v6, vcc
	v_add_u32_e32 v6, 1, v5
	v_cmp_le_u32_e32 vcc, s40, v4
	v_cndmask_b32_e32 v4, v5, v6, vcc
	v_xor_b32_e32 v4, v4, v12
	v_sub_u32_e32 v12, v4, v12
	v_mul_lo_u32 v4, v12, s10
	s_and_b64 vcc, exec, s[0:1]
	v_sub_u32_e32 v4, v13, v4
	v_ashrrev_i32_e32 v5, 31, v4
	v_mov_b32_e32 v6, v4
	s_cbranch_vccnz .LBB10_5
; %bb.4:                                ;   in Loop: Header=BB10_3 Depth=1
	v_sub_u32_e32 v6, 0, v4
	v_max_i32_e32 v6, v4, v6
	v_mul_hi_u32 v14, v6, s45
	v_xor_b32_e32 v16, s11, v5
	s_mov_b32 s17, s46
	v_mul_lo_u32 v15, v14, s42
	v_add_u32_e32 v17, 1, v14
	v_sub_u32_e32 v6, v6, v15
	v_cmp_le_u32_e32 vcc, s42, v6
	v_subrev_u32_e32 v15, s42, v6
	v_cndmask_b32_e32 v14, v14, v17, vcc
	v_cndmask_b32_e32 v6, v6, v15, vcc
	v_add_u32_e32 v15, 1, v14
	v_cmp_le_u32_e32 vcc, s42, v6
	v_cndmask_b32_e32 v6, v14, v15, vcc
	v_xor_b32_e32 v6, v6, v16
	v_sub_u32_e32 v6, v6, v16
.LBB10_5:                               ;   in Loop: Header=BB10_3 Depth=1
	s_andn2_b64 vcc, exec, s[8:9]
	v_mov_b32_e32 v14, 0
	s_cbranch_vccnz .LBB10_7
; %bb.6:                                ;   in Loop: Header=BB10_3 Depth=1
	v_lshlrev_b64 v[14:15], 1, v[4:5]
	v_mov_b32_e32 v5, s29
	v_add_co_u32_e32 v14, vcc, s28, v14
	v_addc_co_u32_e32 v15, vcc, v5, v15, vcc
	global_load_ushort v5, v[14:15], off
	s_waitcnt vmcnt(0)
	v_cvt_f32_f16_e32 v14, v5
.LBB10_7:                               ;   in Loop: Header=BB10_3 Depth=1
	v_mul_lo_u32 v5, v13, s15
	v_mad_u64_u32 v[15:16], s[2:3], s14, v11, v[3:4]
	v_sub_u32_e32 v3, v11, v5
	v_mul_lo_u32 v5, v15, s18
	v_mul_lo_u32 v11, v3, s19
	v_subrev_u32_e32 v3, s22, v5
	v_subrev_u32_e32 v5, s23, v11
	v_cmp_gt_i32_e32 vcc, 0, v3
	v_cmp_gt_i32_e64 s[2:3], 0, v5
	v_cmp_le_i32_e64 s[4:5], s13, v5
	v_cmp_le_i32_e64 s[6:7], s12, v3
	s_or_b64 s[6:7], vcc, s[6:7]
	s_or_b64 s[2:3], s[2:3], s[4:5]
	s_nor_b64 s[4:5], s[2:3], s[6:7]
	s_and_saveexec_b64 s[2:3], s[4:5]
	s_cbranch_execz .LBB10_2
; %bb.8:                                ;   in Loop: Header=BB10_3 Depth=1
	v_mad_u64_u32 v[11:12], s[4:5], s17, v12, v[6:7]
	v_mul_lo_u32 v4, s38, v4
	v_mov_b32_e32 v13, s25
	v_mad_u64_u32 v[5:6], s[4:5], v11, s13, v[5:6]
	v_mad_u64_u32 v[11:12], s[4:5], v5, s12, v[3:4]
	v_ashrrev_i32_e32 v5, 31, v4
	v_lshlrev_b64 v[3:4], 1, v[4:5]
	v_ashrrev_i32_e32 v12, 31, v11
	v_lshlrev_b64 v[5:6], 1, v[11:12]
	v_mov_b32_e32 v11, s27
	v_add_co_u32_e32 v5, vcc, s24, v5
	v_addc_co_u32_e32 v6, vcc, v13, v6, vcc
	v_add_co_u32_e32 v3, vcc, s26, v3
	v_addc_co_u32_e32 v4, vcc, v11, v4, vcc
	global_load_ushort v11, v[3:4], off
	global_load_ushort v12, v[5:6], off
	s_waitcnt vmcnt(0)
	v_fma_mix_f32 v14, v11, v12, v14 op_sel_hi:[1,1,0]
	s_branch .LBB10_2
.LBB10_9:
	s_endpgm
	.section	.rodata,"a",@progbits
	.p2align	6, 0x0
	.amdhsa_kernel _ZN2at6native12_GLOBAL__N_131conv_depthwise2d_forward_kernelILi1EN3c104HalfEiEEvN5torch10headeronly6detail27GenericPackedTensorAccessorINS7_14TensorAccessorINS3_8ArrayRefIlEEKT0_Lm3ENS6_16DefaultPtrTraitsEiEENS_6detail16IndexBoundsCheckILm4EiEESD_Lm4ESE_iEENS8_INS9_ISB_SC_Lm3ESE_iEESI_SC_Lm4ESE_iEESJ_NS8_INS9_ISB_SD_Lm0ESE_iEENSH_ILm1EiEESD_Lm1ESE_iEEbT1_iiiiiiiiiiiiii
		.amdhsa_group_segment_fixed_size 0
		.amdhsa_private_segment_fixed_size 0
		.amdhsa_kernarg_size 456
		.amdhsa_user_sgpr_count 6
		.amdhsa_user_sgpr_private_segment_buffer 1
		.amdhsa_user_sgpr_dispatch_ptr 0
		.amdhsa_user_sgpr_queue_ptr 0
		.amdhsa_user_sgpr_kernarg_segment_ptr 1
		.amdhsa_user_sgpr_dispatch_id 0
		.amdhsa_user_sgpr_flat_scratch_init 0
		.amdhsa_user_sgpr_private_segment_size 0
		.amdhsa_uses_dynamic_stack 0
		.amdhsa_system_sgpr_private_segment_wavefront_offset 0
		.amdhsa_system_sgpr_workgroup_id_x 1
		.amdhsa_system_sgpr_workgroup_id_y 0
		.amdhsa_system_sgpr_workgroup_id_z 0
		.amdhsa_system_sgpr_workgroup_info 0
		.amdhsa_system_vgpr_workitem_id 0
		.amdhsa_next_free_vgpr 18
		.amdhsa_next_free_sgpr 47
		.amdhsa_reserve_vcc 1
		.amdhsa_reserve_flat_scratch 0
		.amdhsa_float_round_mode_32 0
		.amdhsa_float_round_mode_16_64 0
		.amdhsa_float_denorm_mode_32 3
		.amdhsa_float_denorm_mode_16_64 3
		.amdhsa_dx10_clamp 1
		.amdhsa_ieee_mode 1
		.amdhsa_fp16_overflow 0
		.amdhsa_exception_fp_ieee_invalid_op 0
		.amdhsa_exception_fp_denorm_src 0
		.amdhsa_exception_fp_ieee_div_zero 0
		.amdhsa_exception_fp_ieee_overflow 0
		.amdhsa_exception_fp_ieee_underflow 0
		.amdhsa_exception_fp_ieee_inexact 0
		.amdhsa_exception_int_div_zero 0
	.end_amdhsa_kernel
	.section	.text._ZN2at6native12_GLOBAL__N_131conv_depthwise2d_forward_kernelILi1EN3c104HalfEiEEvN5torch10headeronly6detail27GenericPackedTensorAccessorINS7_14TensorAccessorINS3_8ArrayRefIlEEKT0_Lm3ENS6_16DefaultPtrTraitsEiEENS_6detail16IndexBoundsCheckILm4EiEESD_Lm4ESE_iEENS8_INS9_ISB_SC_Lm3ESE_iEESI_SC_Lm4ESE_iEESJ_NS8_INS9_ISB_SD_Lm0ESE_iEENSH_ILm1EiEESD_Lm1ESE_iEEbT1_iiiiiiiiiiiiii,"axG",@progbits,_ZN2at6native12_GLOBAL__N_131conv_depthwise2d_forward_kernelILi1EN3c104HalfEiEEvN5torch10headeronly6detail27GenericPackedTensorAccessorINS7_14TensorAccessorINS3_8ArrayRefIlEEKT0_Lm3ENS6_16DefaultPtrTraitsEiEENS_6detail16IndexBoundsCheckILm4EiEESD_Lm4ESE_iEENS8_INS9_ISB_SC_Lm3ESE_iEESI_SC_Lm4ESE_iEESJ_NS8_INS9_ISB_SD_Lm0ESE_iEENSH_ILm1EiEESD_Lm1ESE_iEEbT1_iiiiiiiiiiiiii,comdat
.Lfunc_end10:
	.size	_ZN2at6native12_GLOBAL__N_131conv_depthwise2d_forward_kernelILi1EN3c104HalfEiEEvN5torch10headeronly6detail27GenericPackedTensorAccessorINS7_14TensorAccessorINS3_8ArrayRefIlEEKT0_Lm3ENS6_16DefaultPtrTraitsEiEENS_6detail16IndexBoundsCheckILm4EiEESD_Lm4ESE_iEENS8_INS9_ISB_SC_Lm3ESE_iEESI_SC_Lm4ESE_iEESJ_NS8_INS9_ISB_SD_Lm0ESE_iEENSH_ILm1EiEESD_Lm1ESE_iEEbT1_iiiiiiiiiiiiii, .Lfunc_end10-_ZN2at6native12_GLOBAL__N_131conv_depthwise2d_forward_kernelILi1EN3c104HalfEiEEvN5torch10headeronly6detail27GenericPackedTensorAccessorINS7_14TensorAccessorINS3_8ArrayRefIlEEKT0_Lm3ENS6_16DefaultPtrTraitsEiEENS_6detail16IndexBoundsCheckILm4EiEESD_Lm4ESE_iEENS8_INS9_ISB_SC_Lm3ESE_iEESI_SC_Lm4ESE_iEESJ_NS8_INS9_ISB_SD_Lm0ESE_iEENSH_ILm1EiEESD_Lm1ESE_iEEbT1_iiiiiiiiiiiiii
                                        ; -- End function
	.set _ZN2at6native12_GLOBAL__N_131conv_depthwise2d_forward_kernelILi1EN3c104HalfEiEEvN5torch10headeronly6detail27GenericPackedTensorAccessorINS7_14TensorAccessorINS3_8ArrayRefIlEEKT0_Lm3ENS6_16DefaultPtrTraitsEiEENS_6detail16IndexBoundsCheckILm4EiEESD_Lm4ESE_iEENS8_INS9_ISB_SC_Lm3ESE_iEESI_SC_Lm4ESE_iEESJ_NS8_INS9_ISB_SD_Lm0ESE_iEENSH_ILm1EiEESD_Lm1ESE_iEEbT1_iiiiiiiiiiiiii.num_vgpr, 18
	.set _ZN2at6native12_GLOBAL__N_131conv_depthwise2d_forward_kernelILi1EN3c104HalfEiEEvN5torch10headeronly6detail27GenericPackedTensorAccessorINS7_14TensorAccessorINS3_8ArrayRefIlEEKT0_Lm3ENS6_16DefaultPtrTraitsEiEENS_6detail16IndexBoundsCheckILm4EiEESD_Lm4ESE_iEENS8_INS9_ISB_SC_Lm3ESE_iEESI_SC_Lm4ESE_iEESJ_NS8_INS9_ISB_SD_Lm0ESE_iEENSH_ILm1EiEESD_Lm1ESE_iEEbT1_iiiiiiiiiiiiii.num_agpr, 0
	.set _ZN2at6native12_GLOBAL__N_131conv_depthwise2d_forward_kernelILi1EN3c104HalfEiEEvN5torch10headeronly6detail27GenericPackedTensorAccessorINS7_14TensorAccessorINS3_8ArrayRefIlEEKT0_Lm3ENS6_16DefaultPtrTraitsEiEENS_6detail16IndexBoundsCheckILm4EiEESD_Lm4ESE_iEENS8_INS9_ISB_SC_Lm3ESE_iEESI_SC_Lm4ESE_iEESJ_NS8_INS9_ISB_SD_Lm0ESE_iEENSH_ILm1EiEESD_Lm1ESE_iEEbT1_iiiiiiiiiiiiii.numbered_sgpr, 47
	.set _ZN2at6native12_GLOBAL__N_131conv_depthwise2d_forward_kernelILi1EN3c104HalfEiEEvN5torch10headeronly6detail27GenericPackedTensorAccessorINS7_14TensorAccessorINS3_8ArrayRefIlEEKT0_Lm3ENS6_16DefaultPtrTraitsEiEENS_6detail16IndexBoundsCheckILm4EiEESD_Lm4ESE_iEENS8_INS9_ISB_SC_Lm3ESE_iEESI_SC_Lm4ESE_iEESJ_NS8_INS9_ISB_SD_Lm0ESE_iEENSH_ILm1EiEESD_Lm1ESE_iEEbT1_iiiiiiiiiiiiii.num_named_barrier, 0
	.set _ZN2at6native12_GLOBAL__N_131conv_depthwise2d_forward_kernelILi1EN3c104HalfEiEEvN5torch10headeronly6detail27GenericPackedTensorAccessorINS7_14TensorAccessorINS3_8ArrayRefIlEEKT0_Lm3ENS6_16DefaultPtrTraitsEiEENS_6detail16IndexBoundsCheckILm4EiEESD_Lm4ESE_iEENS8_INS9_ISB_SC_Lm3ESE_iEESI_SC_Lm4ESE_iEESJ_NS8_INS9_ISB_SD_Lm0ESE_iEENSH_ILm1EiEESD_Lm1ESE_iEEbT1_iiiiiiiiiiiiii.private_seg_size, 0
	.set _ZN2at6native12_GLOBAL__N_131conv_depthwise2d_forward_kernelILi1EN3c104HalfEiEEvN5torch10headeronly6detail27GenericPackedTensorAccessorINS7_14TensorAccessorINS3_8ArrayRefIlEEKT0_Lm3ENS6_16DefaultPtrTraitsEiEENS_6detail16IndexBoundsCheckILm4EiEESD_Lm4ESE_iEENS8_INS9_ISB_SC_Lm3ESE_iEESI_SC_Lm4ESE_iEESJ_NS8_INS9_ISB_SD_Lm0ESE_iEENSH_ILm1EiEESD_Lm1ESE_iEEbT1_iiiiiiiiiiiiii.uses_vcc, 1
	.set _ZN2at6native12_GLOBAL__N_131conv_depthwise2d_forward_kernelILi1EN3c104HalfEiEEvN5torch10headeronly6detail27GenericPackedTensorAccessorINS7_14TensorAccessorINS3_8ArrayRefIlEEKT0_Lm3ENS6_16DefaultPtrTraitsEiEENS_6detail16IndexBoundsCheckILm4EiEESD_Lm4ESE_iEENS8_INS9_ISB_SC_Lm3ESE_iEESI_SC_Lm4ESE_iEESJ_NS8_INS9_ISB_SD_Lm0ESE_iEENSH_ILm1EiEESD_Lm1ESE_iEEbT1_iiiiiiiiiiiiii.uses_flat_scratch, 0
	.set _ZN2at6native12_GLOBAL__N_131conv_depthwise2d_forward_kernelILi1EN3c104HalfEiEEvN5torch10headeronly6detail27GenericPackedTensorAccessorINS7_14TensorAccessorINS3_8ArrayRefIlEEKT0_Lm3ENS6_16DefaultPtrTraitsEiEENS_6detail16IndexBoundsCheckILm4EiEESD_Lm4ESE_iEENS8_INS9_ISB_SC_Lm3ESE_iEESI_SC_Lm4ESE_iEESJ_NS8_INS9_ISB_SD_Lm0ESE_iEENSH_ILm1EiEESD_Lm1ESE_iEEbT1_iiiiiiiiiiiiii.has_dyn_sized_stack, 0
	.set _ZN2at6native12_GLOBAL__N_131conv_depthwise2d_forward_kernelILi1EN3c104HalfEiEEvN5torch10headeronly6detail27GenericPackedTensorAccessorINS7_14TensorAccessorINS3_8ArrayRefIlEEKT0_Lm3ENS6_16DefaultPtrTraitsEiEENS_6detail16IndexBoundsCheckILm4EiEESD_Lm4ESE_iEENS8_INS9_ISB_SC_Lm3ESE_iEESI_SC_Lm4ESE_iEESJ_NS8_INS9_ISB_SD_Lm0ESE_iEENSH_ILm1EiEESD_Lm1ESE_iEEbT1_iiiiiiiiiiiiii.has_recursion, 0
	.set _ZN2at6native12_GLOBAL__N_131conv_depthwise2d_forward_kernelILi1EN3c104HalfEiEEvN5torch10headeronly6detail27GenericPackedTensorAccessorINS7_14TensorAccessorINS3_8ArrayRefIlEEKT0_Lm3ENS6_16DefaultPtrTraitsEiEENS_6detail16IndexBoundsCheckILm4EiEESD_Lm4ESE_iEENS8_INS9_ISB_SC_Lm3ESE_iEESI_SC_Lm4ESE_iEESJ_NS8_INS9_ISB_SD_Lm0ESE_iEENSH_ILm1EiEESD_Lm1ESE_iEEbT1_iiiiiiiiiiiiii.has_indirect_call, 0
	.section	.AMDGPU.csdata,"",@progbits
; Kernel info:
; codeLenInByte = 1144
; TotalNumSgprs: 51
; NumVgprs: 18
; ScratchSize: 0
; MemoryBound: 0
; FloatMode: 240
; IeeeMode: 1
; LDSByteSize: 0 bytes/workgroup (compile time only)
; SGPRBlocks: 6
; VGPRBlocks: 4
; NumSGPRsForWavesPerEU: 51
; NumVGPRsForWavesPerEU: 18
; Occupancy: 10
; WaveLimiterHint : 0
; COMPUTE_PGM_RSRC2:SCRATCH_EN: 0
; COMPUTE_PGM_RSRC2:USER_SGPR: 6
; COMPUTE_PGM_RSRC2:TRAP_HANDLER: 0
; COMPUTE_PGM_RSRC2:TGID_X_EN: 1
; COMPUTE_PGM_RSRC2:TGID_Y_EN: 0
; COMPUTE_PGM_RSRC2:TGID_Z_EN: 0
; COMPUTE_PGM_RSRC2:TIDIG_COMP_CNT: 0
	.section	.text._ZN2at6native12_GLOBAL__N_139conv_depthwise2d_forward_kernel_genericIN3c104HalfEiEEvN5torch10headeronly6detail27GenericPackedTensorAccessorINS7_14TensorAccessorINS3_8ArrayRefIlEEKT_Lm3ENS6_16DefaultPtrTraitsEiEENS_6detail16IndexBoundsCheckILm4EiEESD_Lm4ESE_iEENS8_INS9_ISB_SC_Lm3ESE_iEESI_SC_Lm4ESE_iEESJ_NS8_INS9_ISB_SD_Lm0ESE_iEENSH_ILm1EiEESD_Lm1ESE_iEEbT0_iiiiiiiiiiiiii,"axG",@progbits,_ZN2at6native12_GLOBAL__N_139conv_depthwise2d_forward_kernel_genericIN3c104HalfEiEEvN5torch10headeronly6detail27GenericPackedTensorAccessorINS7_14TensorAccessorINS3_8ArrayRefIlEEKT_Lm3ENS6_16DefaultPtrTraitsEiEENS_6detail16IndexBoundsCheckILm4EiEESD_Lm4ESE_iEENS8_INS9_ISB_SC_Lm3ESE_iEESI_SC_Lm4ESE_iEESJ_NS8_INS9_ISB_SD_Lm0ESE_iEENSH_ILm1EiEESD_Lm1ESE_iEEbT0_iiiiiiiiiiiiii,comdat
	.globl	_ZN2at6native12_GLOBAL__N_139conv_depthwise2d_forward_kernel_genericIN3c104HalfEiEEvN5torch10headeronly6detail27GenericPackedTensorAccessorINS7_14TensorAccessorINS3_8ArrayRefIlEEKT_Lm3ENS6_16DefaultPtrTraitsEiEENS_6detail16IndexBoundsCheckILm4EiEESD_Lm4ESE_iEENS8_INS9_ISB_SC_Lm3ESE_iEESI_SC_Lm4ESE_iEESJ_NS8_INS9_ISB_SD_Lm0ESE_iEENSH_ILm1EiEESD_Lm1ESE_iEEbT0_iiiiiiiiiiiiii ; -- Begin function _ZN2at6native12_GLOBAL__N_139conv_depthwise2d_forward_kernel_genericIN3c104HalfEiEEvN5torch10headeronly6detail27GenericPackedTensorAccessorINS7_14TensorAccessorINS3_8ArrayRefIlEEKT_Lm3ENS6_16DefaultPtrTraitsEiEENS_6detail16IndexBoundsCheckILm4EiEESD_Lm4ESE_iEENS8_INS9_ISB_SC_Lm3ESE_iEESI_SC_Lm4ESE_iEESJ_NS8_INS9_ISB_SD_Lm0ESE_iEENSH_ILm1EiEESD_Lm1ESE_iEEbT0_iiiiiiiiiiiiii
	.p2align	8
	.type	_ZN2at6native12_GLOBAL__N_139conv_depthwise2d_forward_kernel_genericIN3c104HalfEiEEvN5torch10headeronly6detail27GenericPackedTensorAccessorINS7_14TensorAccessorINS3_8ArrayRefIlEEKT_Lm3ENS6_16DefaultPtrTraitsEiEENS_6detail16IndexBoundsCheckILm4EiEESD_Lm4ESE_iEENS8_INS9_ISB_SC_Lm3ESE_iEESI_SC_Lm4ESE_iEESJ_NS8_INS9_ISB_SD_Lm0ESE_iEENSH_ILm1EiEESD_Lm1ESE_iEEbT0_iiiiiiiiiiiiii,@function
_ZN2at6native12_GLOBAL__N_139conv_depthwise2d_forward_kernel_genericIN3c104HalfEiEEvN5torch10headeronly6detail27GenericPackedTensorAccessorINS7_14TensorAccessorINS3_8ArrayRefIlEEKT_Lm3ENS6_16DefaultPtrTraitsEiEENS_6detail16IndexBoundsCheckILm4EiEESD_Lm4ESE_iEENS8_INS9_ISB_SC_Lm3ESE_iEESI_SC_Lm4ESE_iEESJ_NS8_INS9_ISB_SD_Lm0ESE_iEENSH_ILm1EiEESD_Lm1ESE_iEEbT0_iiiiiiiiiiiiii: ; @_ZN2at6native12_GLOBAL__N_139conv_depthwise2d_forward_kernel_genericIN3c104HalfEiEEvN5torch10headeronly6detail27GenericPackedTensorAccessorINS7_14TensorAccessorINS3_8ArrayRefIlEEKT_Lm3ENS6_16DefaultPtrTraitsEiEENS_6detail16IndexBoundsCheckILm4EiEESD_Lm4ESE_iEENS8_INS9_ISB_SC_Lm3ESE_iEESI_SC_Lm4ESE_iEESJ_NS8_INS9_ISB_SD_Lm0ESE_iEENSH_ILm1EiEESD_Lm1ESE_iEEbT0_iiiiiiiiiiiiii
; %bb.0:
	s_load_dword s0, s[4:5], 0xd4
	s_load_dwordx16 s[8:23], s[4:5], 0x88
	s_add_u32 s2, s4, 0xc8
	s_addc_u32 s3, s5, 0
	v_mov_b32_e32 v1, 0
	s_waitcnt lgkmcnt(0)
	s_and_b32 s34, s0, 0xffff
	v_mov_b32_e32 v2, s6
	v_mad_u64_u32 v[0:1], s[0:1], s34, v2, v[0:1]
	s_ashr_i32 s7, s9, 31
	s_mov_b32 s6, s9
	v_cmp_gt_i64_e32 vcc, s[6:7], v[0:1]
	s_and_saveexec_b64 s[0:1], vcc
	s_cbranch_execz .LBB11_23
; %bb.1:
	s_bitcmp1_b32 s8, 0
	s_cselect_b64 s[8:9], -1, 0
	s_cmp_lg_u32 s11, 1
	s_cselect_b64 s[0:1], -1, 0
	s_abs_i32 s33, s14
	v_cvt_f32_u32_e32 v2, s33
	s_load_dwordx2 s[24:25], s[4:5], 0x0
	s_load_dwordx2 s[26:27], s[4:5], 0x28
	;; [unrolled: 1-line block ×4, first 2 shown]
	s_load_dword s35, s[2:3], 0x0
	s_sub_i32 s3, 0, s33
	s_abs_i32 s43, s15
	v_rcp_iflag_f32_e32 v2, v2
	v_cvt_f32_u32_e32 v4, s43
	s_abs_i32 s48, s10
	s_abs_i32 s49, s11
	v_mul_f32_e32 v2, 0x4f7ffffe, v2
	v_cvt_u32_f32_e32 v2, v2
	v_cvt_f32_u32_e32 v5, s49
	v_rcp_iflag_f32_e32 v4, v4
	s_add_i32 s2, s17, -1
	v_mul_lo_u32 v3, s3, v2
	v_rcp_iflag_f32_e32 v5, v5
	s_mul_i32 s2, s23, s2
	s_sub_i32 s42, s2, s13
	v_mul_hi_u32 v3, v2, v3
	v_mul_f32_e32 v5, 0x4f7ffffe, v5
	s_add_i32 s2, s16, -1
	v_cvt_u32_f32_e32 v5, v5
	v_add_u32_e32 v9, v2, v3
	v_cvt_f32_u32_e32 v3, s48
	v_mul_f32_e32 v2, 0x4f7ffffe, v4
	v_cvt_u32_f32_e32 v2, v2
	s_mul_i32 s2, s22, s2
	v_rcp_iflag_f32_e32 v3, v3
	s_sub_i32 s44, s2, s12
	s_sub_i32 s2, 0, s43
	v_mul_lo_u32 v4, s2, v2
	v_mul_f32_e32 v3, 0x4f7ffffe, v3
	v_cvt_u32_f32_e32 v3, v3
	s_sub_i32 s2, 0, s48
	v_readfirstlane_b32 s3, v5
	s_ashr_i32 s50, s10, 31
	v_mul_lo_u32 v6, s2, v3
	s_sub_i32 s2, 0, s49
	s_mul_i32 s2, s2, s3
	s_mul_hi_u32 s2, s3, s2
	s_add_i32 s51, s3, s2
	s_mul_hi_u32 s3, s48, s51
	s_mul_i32 s4, s3, s49
	s_ashr_i32 s11, s11, 31
	s_sub_i32 s4, s48, s4
	s_waitcnt lgkmcnt(0)
	s_mul_i32 s45, s35, s34
	s_ashr_i32 s46, s14, 31
	s_ashr_i32 s47, s15, 31
	s_xor_b32 s2, s50, s11
	s_add_i32 s5, s3, 1
	s_sub_i32 s34, s4, s49
	s_cmp_ge_u32 s4, s49
	s_cselect_b32 s3, s5, s3
	s_cselect_b32 s4, s34, s4
	s_add_i32 s5, s3, 1
	s_cmp_ge_u32 s4, s49
	s_cselect_b32 s3, s5, s3
	s_abs_i32 s52, s23
	v_cvt_f32_u32_e32 v5, s52
	s_abs_i32 s53, s22
	v_mul_hi_u32 v4, v2, v4
	v_cvt_f32_u32_e32 v7, s53
	v_mul_hi_u32 v6, v3, v6
	v_rcp_iflag_f32_e32 v5, v5
	v_add_u32_e32 v10, v2, v4
	v_rcp_iflag_f32_e32 v2, v7
	v_add_u32_e32 v11, v3, v6
	v_mul_f32_e32 v3, 0x4f7ffffe, v5
	v_cvt_u32_f32_e32 v3, v3
	v_mul_f32_e32 v2, 0x4f7ffffe, v2
	v_cvt_u32_f32_e32 v2, v2
	s_sub_i32 s4, 0, s52
	v_mul_lo_u32 v4, s4, v3
	s_sub_i32 s4, 0, s53
	v_mul_lo_u32 v5, s4, v2
	s_xor_b32 s3, s3, s2
	v_mul_hi_u32 v4, v3, v4
	s_sub_i32 s54, s3, s2
	v_mul_hi_u32 v5, v2, v5
	s_ashr_i32 s55, s23, 31
	v_add_u32_e32 v12, v3, v4
	s_ashr_i32 s56, s22, 31
	v_add_u32_e32 v13, v2, v5
	v_cndmask_b32_e64 v2, 0, 1, s[0:1]
	s_sub_i32 s57, 0, s20
	s_sub_i32 s58, 0, s21
	s_mul_i32 s59, s23, s12
	s_mov_b64 s[4:5], 0
	v_cmp_ne_u32_e64 s[0:1], 1, v2
	s_branch .LBB11_4
.LBB11_2:                               ;   in Loop: Header=BB11_4 Depth=1
	s_or_b64 exec, exec, s[36:37]
.LBB11_3:                               ;   in Loop: Header=BB11_4 Depth=1
	s_or_b64 exec, exec, s[34:35]
	v_lshlrev_b64 v[2:3], 1, v[0:1]
	v_add_co_u32_e32 v0, vcc, s45, v0
	v_cvt_f16_f32_e32 v4, v16
	v_addc_co_u32_e32 v1, vcc, 0, v1, vcc
	v_cmp_le_i64_e32 vcc, s[6:7], v[0:1]
	v_mov_b32_e32 v5, s27
	v_add_co_u32_e64 v2, s[2:3], s26, v2
	v_addc_co_u32_e64 v3, s[2:3], v5, v3, s[2:3]
	s_or_b64 s[4:5], vcc, s[4:5]
	global_store_short v[2:3], v4, off
	s_andn2_b64 exec, exec, s[4:5]
	s_cbranch_execz .LBB11_23
.LBB11_4:                               ; =>This Loop Header: Depth=1
                                        ;     Child Loop BB11_19 Depth 2
                                        ;       Child Loop BB11_21 Depth 3
	v_sub_u32_e32 v2, 0, v0
	v_max_i32_e32 v2, v0, v2
	v_mul_hi_u32 v3, v2, v9
	v_ashrrev_i32_e32 v5, 31, v0
	v_xor_b32_e32 v5, s46, v5
	s_mov_b32 s36, s10
	v_mul_lo_u32 v4, v3, s33
	v_add_u32_e32 v6, 1, v3
	v_sub_u32_e32 v2, v2, v4
	v_cmp_le_u32_e32 vcc, s33, v2
	v_subrev_u32_e32 v4, s33, v2
	v_cndmask_b32_e32 v3, v3, v6, vcc
	v_cndmask_b32_e32 v2, v2, v4, vcc
	v_add_u32_e32 v4, 1, v3
	v_cmp_le_u32_e32 vcc, s33, v2
	v_cndmask_b32_e32 v2, v3, v4, vcc
	v_xor_b32_e32 v2, v2, v5
	v_sub_u32_e32 v6, v2, v5
	v_sub_u32_e32 v2, 0, v6
	v_max_i32_e32 v2, v6, v2
	v_mul_hi_u32 v3, v2, v10
	v_ashrrev_i32_e32 v5, 31, v6
	v_xor_b32_e32 v5, s47, v5
	v_mul_lo_u32 v4, v3, s43
	v_add_u32_e32 v7, 1, v3
	v_sub_u32_e32 v2, v2, v4
	v_cmp_le_u32_e32 vcc, s43, v2
	v_subrev_u32_e32 v4, s43, v2
	v_cndmask_b32_e32 v3, v3, v7, vcc
	v_cndmask_b32_e32 v2, v2, v4, vcc
	v_add_u32_e32 v4, 1, v3
	v_cmp_le_u32_e32 vcc, s43, v2
	v_cndmask_b32_e32 v2, v3, v4, vcc
	v_xor_b32_e32 v2, v2, v5
	v_sub_u32_e32 v2, v2, v5
	v_sub_u32_e32 v3, 0, v2
	v_max_i32_e32 v3, v2, v3
	v_mul_hi_u32 v4, v3, v11
	v_ashrrev_i32_e32 v7, 31, v2
	v_xor_b32_e32 v7, s50, v7
	v_mul_lo_u32 v5, v4, s48
	v_add_u32_e32 v8, 1, v4
	v_sub_u32_e32 v3, v3, v5
	v_cmp_le_u32_e32 vcc, s48, v3
	v_subrev_u32_e32 v5, s48, v3
	v_cndmask_b32_e32 v4, v4, v8, vcc
	v_cndmask_b32_e32 v3, v3, v5, vcc
	v_add_u32_e32 v5, 1, v4
	v_cmp_le_u32_e32 vcc, s48, v3
	v_cndmask_b32_e32 v3, v4, v5, vcc
	v_xor_b32_e32 v3, v3, v7
	v_sub_u32_e32 v7, v3, v7
	v_mul_lo_u32 v3, v7, s10
	s_and_b64 vcc, exec, s[0:1]
	v_sub_u32_e32 v3, v2, v3
	v_ashrrev_i32_e32 v4, 31, v3
	v_mov_b32_e32 v5, v3
	s_cbranch_vccnz .LBB11_6
; %bb.5:                                ;   in Loop: Header=BB11_4 Depth=1
	v_sub_u32_e32 v5, 0, v3
	v_max_i32_e32 v5, v3, v5
	v_mul_hi_u32 v8, v5, s51
	v_xor_b32_e32 v15, s11, v4
	s_mov_b32 s36, s54
	v_mul_lo_u32 v14, v8, s49
	v_add_u32_e32 v16, 1, v8
	v_sub_u32_e32 v5, v5, v14
	v_cmp_le_u32_e32 vcc, s49, v5
	v_subrev_u32_e32 v14, s49, v5
	v_cndmask_b32_e32 v8, v8, v16, vcc
	v_cndmask_b32_e32 v5, v5, v14, vcc
	v_add_u32_e32 v14, 1, v8
	v_cmp_le_u32_e32 vcc, s49, v5
	v_cndmask_b32_e32 v5, v8, v14, vcc
	v_xor_b32_e32 v5, v5, v15
	v_sub_u32_e32 v5, v5, v15
.LBB11_6:                               ;   in Loop: Header=BB11_4 Depth=1
	v_mul_lo_u32 v2, v2, s15
	v_sub_u32_e32 v2, v6, v2
	v_mul_lo_u32 v8, v2, s19
	v_mov_b32_e32 v2, 0
	v_subrev_u32_e32 v14, s21, v8
	v_cmp_gt_i32_e32 vcc, 0, v14
	s_and_saveexec_b64 s[2:3], vcc
	s_cbranch_execz .LBB11_8
; %bb.7:                                ;   in Loop: Header=BB11_4 Depth=1
	v_sub_u32_e32 v2, 0, v14
	v_max_i32_e32 v15, v2, v14
	v_mul_hi_u32 v16, v15, v12
	v_ashrrev_i32_e32 v18, 31, v2
	v_xor_b32_e32 v18, s55, v18
	v_mul_lo_u32 v17, v16, s52
	v_add_u32_e32 v19, 1, v16
	v_sub_u32_e32 v15, v15, v17
	v_cmp_le_u32_e32 vcc, s52, v15
	v_subrev_u32_e32 v17, s52, v15
	v_cndmask_b32_e32 v16, v16, v19, vcc
	v_cndmask_b32_e32 v15, v15, v17, vcc
	v_add_u32_e32 v17, 1, v16
	v_cmp_le_u32_e32 vcc, s52, v15
	v_cndmask_b32_e32 v15, v16, v17, vcc
	v_xor_b32_e32 v15, v15, v18
	v_sub_u32_e32 v15, v15, v18
	v_mul_lo_u32 v16, v15, s23
	v_sub_u32_e32 v2, v2, v16
	v_cmp_ne_u32_e32 vcc, 0, v2
	v_addc_co_u32_e32 v2, vcc, 0, v15, vcc
.LBB11_8:                               ;   in Loop: Header=BB11_4 Depth=1
	s_or_b64 exec, exec, s[2:3]
	v_add_u32_e32 v15, s42, v14
	v_cmp_lt_i32_e32 vcc, -2, v15
	v_mov_b32_e32 v14, s17
	s_and_saveexec_b64 s[2:3], vcc
	s_cbranch_execz .LBB11_10
; %bb.9:                                ;   in Loop: Header=BB11_4 Depth=1
	v_add_u32_e32 v14, 1, v15
	v_not_b32_e32 v15, v15
	v_max_i32_e32 v15, v14, v15
	v_mul_hi_u32 v16, v15, v12
	v_ashrrev_i32_e32 v18, 31, v14
	v_xor_b32_e32 v18, s55, v18
	v_mul_lo_u32 v17, v16, s52
	v_add_u32_e32 v19, 1, v16
	v_sub_u32_e32 v15, v15, v17
	v_cmp_le_u32_e32 vcc, s52, v15
	v_subrev_u32_e32 v17, s52, v15
	v_cndmask_b32_e32 v16, v16, v19, vcc
	v_cndmask_b32_e32 v15, v15, v17, vcc
	v_add_u32_e32 v17, 1, v16
	v_cmp_le_u32_e32 vcc, s52, v15
	v_cndmask_b32_e32 v15, v16, v17, vcc
	v_xor_b32_e32 v15, v15, v18
	v_sub_u32_e32 v15, v15, v18
	v_mul_lo_u32 v16, v15, s23
	v_mov_b32_e32 v17, s17
	v_sub_u32_e32 v14, v14, v16
	v_cmp_ne_u32_e32 vcc, 0, v14
	v_subb_co_u32_e32 v14, vcc, v17, v15, vcc
.LBB11_10:                              ;   in Loop: Header=BB11_4 Depth=1
	s_or_b64 exec, exec, s[2:3]
	v_mul_lo_u32 v6, v6, s14
	v_sub_u32_e32 v6, v0, v6
	v_mul_lo_u32 v17, v6, s18
	v_mov_b32_e32 v6, 0
	v_subrev_u32_e32 v15, s20, v17
	v_cmp_gt_i32_e32 vcc, 0, v15
	s_and_saveexec_b64 s[2:3], vcc
	s_cbranch_execz .LBB11_12
; %bb.11:                               ;   in Loop: Header=BB11_4 Depth=1
	v_sub_u32_e32 v6, 0, v15
	v_max_i32_e32 v16, v6, v15
	v_mul_hi_u32 v18, v16, v13
	v_ashrrev_i32_e32 v20, 31, v6
	v_xor_b32_e32 v20, s56, v20
	v_mul_lo_u32 v19, v18, s53
	v_add_u32_e32 v21, 1, v18
	v_sub_u32_e32 v16, v16, v19
	v_cmp_le_u32_e32 vcc, s53, v16
	v_subrev_u32_e32 v19, s53, v16
	v_cndmask_b32_e32 v18, v18, v21, vcc
	v_cndmask_b32_e32 v16, v16, v19, vcc
	v_add_u32_e32 v19, 1, v18
	v_cmp_le_u32_e32 vcc, s53, v16
	v_cndmask_b32_e32 v16, v18, v19, vcc
	v_xor_b32_e32 v16, v16, v20
	v_sub_u32_e32 v16, v16, v20
	v_mul_lo_u32 v18, v16, s22
	v_sub_u32_e32 v6, v6, v18
	v_cmp_ne_u32_e32 vcc, 0, v6
	v_addc_co_u32_e32 v6, vcc, 0, v16, vcc
.LBB11_12:                              ;   in Loop: Header=BB11_4 Depth=1
	s_or_b64 exec, exec, s[2:3]
	v_add_u32_e32 v16, s44, v15
	v_cmp_lt_i32_e32 vcc, -2, v16
	v_mov_b32_e32 v15, s16
	s_and_saveexec_b64 s[2:3], vcc
	s_cbranch_execnz .LBB11_15
; %bb.13:                               ;   in Loop: Header=BB11_4 Depth=1
	s_or_b64 exec, exec, s[2:3]
	s_andn2_b64 vcc, exec, s[8:9]
	v_mov_b32_e32 v16, 0
	s_cbranch_vccz .LBB11_16
.LBB11_14:                              ;   in Loop: Header=BB11_4 Depth=1
	v_cmp_lt_i32_e32 vcc, v2, v14
	s_and_saveexec_b64 s[34:35], vcc
	s_cbranch_execz .LBB11_3
	s_branch .LBB11_17
.LBB11_15:                              ;   in Loop: Header=BB11_4 Depth=1
	v_add_u32_e32 v15, 1, v16
	v_not_b32_e32 v16, v16
	v_max_i32_e32 v16, v15, v16
	v_mul_hi_u32 v18, v16, v13
	v_ashrrev_i32_e32 v20, 31, v15
	v_xor_b32_e32 v20, s56, v20
	v_mul_lo_u32 v19, v18, s53
	v_add_u32_e32 v21, 1, v18
	v_sub_u32_e32 v16, v16, v19
	v_cmp_le_u32_e32 vcc, s53, v16
	v_subrev_u32_e32 v19, s53, v16
	v_cndmask_b32_e32 v18, v18, v21, vcc
	v_cndmask_b32_e32 v16, v16, v19, vcc
	v_add_u32_e32 v19, 1, v18
	v_cmp_le_u32_e32 vcc, s53, v16
	v_cndmask_b32_e32 v16, v18, v19, vcc
	v_xor_b32_e32 v16, v16, v20
	v_sub_u32_e32 v16, v16, v20
	v_mul_lo_u32 v18, v16, s22
	v_mov_b32_e32 v19, s16
	v_sub_u32_e32 v15, v15, v18
	v_cmp_ne_u32_e32 vcc, 0, v15
	v_subb_co_u32_e32 v15, vcc, v19, v16, vcc
	s_or_b64 exec, exec, s[2:3]
	s_andn2_b64 vcc, exec, s[8:9]
	v_mov_b32_e32 v16, 0
	s_cbranch_vccnz .LBB11_14
.LBB11_16:                              ;   in Loop: Header=BB11_4 Depth=1
	v_lshlrev_b64 v[18:19], 1, v[3:4]
	v_mov_b32_e32 v4, s31
	v_add_co_u32_e32 v18, vcc, s30, v18
	v_addc_co_u32_e32 v19, vcc, v4, v19, vcc
	global_load_ushort v4, v[18:19], off
	s_waitcnt vmcnt(0)
	v_cvt_f32_f16_e32 v16, v4
	v_cmp_lt_i32_e32 vcc, v2, v14
	s_and_saveexec_b64 s[34:35], vcc
	s_cbranch_execz .LBB11_3
.LBB11_17:                              ;   in Loop: Header=BB11_4 Depth=1
	v_mad_u64_u32 v[4:5], s[2:3], s36, v7, v[5:6]
	v_mul_lo_u32 v5, s23, v2
	v_mul_lo_u32 v18, s22, v6
	v_mul_lo_u32 v7, v4, s13
	v_mad_u64_u32 v[3:4], s[2:3], v3, s17, v[2:3]
	v_add_u32_e32 v4, s58, v5
	v_add3_u32 v4, v4, v8, v7
	v_mul_lo_u32 v5, s12, v4
	v_mad_u64_u32 v[3:4], s[2:3], s16, v3, v[6:7]
	v_add_u32_e32 v4, s57, v18
	v_cmp_lt_i32_e32 vcc, v6, v15
	v_add3_u32 v17, v4, v5, v17
	s_mov_b64 s[36:37], 0
	s_branch .LBB11_19
.LBB11_18:                              ;   in Loop: Header=BB11_19 Depth=2
	s_or_b64 exec, exec, s[38:39]
	v_add_u32_e32 v2, 1, v2
	v_cmp_ge_i32_e64 s[2:3], v2, v14
	v_add_u32_e32 v3, s16, v3
	s_or_b64 s[36:37], s[2:3], s[36:37]
	v_add_u32_e32 v17, s59, v17
	s_andn2_b64 exec, exec, s[36:37]
	s_cbranch_execz .LBB11_2
.LBB11_19:                              ;   Parent Loop BB11_4 Depth=1
                                        ; =>  This Loop Header: Depth=2
                                        ;       Child Loop BB11_21 Depth 3
	s_and_saveexec_b64 s[38:39], vcc
	s_cbranch_execz .LBB11_18
; %bb.20:                               ;   in Loop: Header=BB11_19 Depth=2
	v_ashrrev_i32_e32 v4, 31, v3
	v_lshlrev_b64 v[4:5], 1, v[3:4]
	v_mov_b32_e32 v7, s29
	v_add_co_u32_e64 v4, s[2:3], s28, v4
	v_addc_co_u32_e64 v5, s[2:3], v7, v5, s[2:3]
	s_mov_b64 s[40:41], 0
	v_mov_b32_e32 v7, v17
	v_mov_b32_e32 v18, v6
.LBB11_21:                              ;   Parent Loop BB11_4 Depth=1
                                        ;     Parent Loop BB11_19 Depth=2
                                        ; =>    This Inner Loop Header: Depth=3
	v_ashrrev_i32_e32 v8, 31, v7
	v_lshlrev_b64 v[19:20], 1, v[7:8]
	v_mov_b32_e32 v22, s25
	v_add_co_u32_e64 v19, s[2:3], s24, v19
	v_addc_co_u32_e64 v20, s[2:3], v22, v20, s[2:3]
	global_load_ushort v21, v[4:5], off
	global_load_ushort v8, v[19:20], off
	v_add_co_u32_e64 v4, s[2:3], 2, v4
	v_add_u32_e32 v18, 1, v18
	v_addc_co_u32_e64 v5, s[2:3], 0, v5, s[2:3]
	v_cmp_ge_i32_e64 s[2:3], v18, v15
	v_add_u32_e32 v7, s22, v7
	s_or_b64 s[40:41], s[2:3], s[40:41]
	s_waitcnt vmcnt(0)
	v_fma_mix_f32 v16, v21, v8, v16 op_sel_hi:[1,1,0]
	s_andn2_b64 exec, exec, s[40:41]
	s_cbranch_execnz .LBB11_21
; %bb.22:                               ;   in Loop: Header=BB11_19 Depth=2
	s_or_b64 exec, exec, s[40:41]
	s_branch .LBB11_18
.LBB11_23:
	s_endpgm
	.section	.rodata,"a",@progbits
	.p2align	6, 0x0
	.amdhsa_kernel _ZN2at6native12_GLOBAL__N_139conv_depthwise2d_forward_kernel_genericIN3c104HalfEiEEvN5torch10headeronly6detail27GenericPackedTensorAccessorINS7_14TensorAccessorINS3_8ArrayRefIlEEKT_Lm3ENS6_16DefaultPtrTraitsEiEENS_6detail16IndexBoundsCheckILm4EiEESD_Lm4ESE_iEENS8_INS9_ISB_SC_Lm3ESE_iEESI_SC_Lm4ESE_iEESJ_NS8_INS9_ISB_SD_Lm0ESE_iEENSH_ILm1EiEESD_Lm1ESE_iEEbT0_iiiiiiiiiiiiii
		.amdhsa_group_segment_fixed_size 0
		.amdhsa_private_segment_fixed_size 0
		.amdhsa_kernarg_size 456
		.amdhsa_user_sgpr_count 6
		.amdhsa_user_sgpr_private_segment_buffer 1
		.amdhsa_user_sgpr_dispatch_ptr 0
		.amdhsa_user_sgpr_queue_ptr 0
		.amdhsa_user_sgpr_kernarg_segment_ptr 1
		.amdhsa_user_sgpr_dispatch_id 0
		.amdhsa_user_sgpr_flat_scratch_init 0
		.amdhsa_user_sgpr_private_segment_size 0
		.amdhsa_uses_dynamic_stack 0
		.amdhsa_system_sgpr_private_segment_wavefront_offset 0
		.amdhsa_system_sgpr_workgroup_id_x 1
		.amdhsa_system_sgpr_workgroup_id_y 0
		.amdhsa_system_sgpr_workgroup_id_z 0
		.amdhsa_system_sgpr_workgroup_info 0
		.amdhsa_system_vgpr_workitem_id 0
		.amdhsa_next_free_vgpr 23
		.amdhsa_next_free_sgpr 60
		.amdhsa_reserve_vcc 1
		.amdhsa_reserve_flat_scratch 0
		.amdhsa_float_round_mode_32 0
		.amdhsa_float_round_mode_16_64 0
		.amdhsa_float_denorm_mode_32 3
		.amdhsa_float_denorm_mode_16_64 3
		.amdhsa_dx10_clamp 1
		.amdhsa_ieee_mode 1
		.amdhsa_fp16_overflow 0
		.amdhsa_exception_fp_ieee_invalid_op 0
		.amdhsa_exception_fp_denorm_src 0
		.amdhsa_exception_fp_ieee_div_zero 0
		.amdhsa_exception_fp_ieee_overflow 0
		.amdhsa_exception_fp_ieee_underflow 0
		.amdhsa_exception_fp_ieee_inexact 0
		.amdhsa_exception_int_div_zero 0
	.end_amdhsa_kernel
	.section	.text._ZN2at6native12_GLOBAL__N_139conv_depthwise2d_forward_kernel_genericIN3c104HalfEiEEvN5torch10headeronly6detail27GenericPackedTensorAccessorINS7_14TensorAccessorINS3_8ArrayRefIlEEKT_Lm3ENS6_16DefaultPtrTraitsEiEENS_6detail16IndexBoundsCheckILm4EiEESD_Lm4ESE_iEENS8_INS9_ISB_SC_Lm3ESE_iEESI_SC_Lm4ESE_iEESJ_NS8_INS9_ISB_SD_Lm0ESE_iEENSH_ILm1EiEESD_Lm1ESE_iEEbT0_iiiiiiiiiiiiii,"axG",@progbits,_ZN2at6native12_GLOBAL__N_139conv_depthwise2d_forward_kernel_genericIN3c104HalfEiEEvN5torch10headeronly6detail27GenericPackedTensorAccessorINS7_14TensorAccessorINS3_8ArrayRefIlEEKT_Lm3ENS6_16DefaultPtrTraitsEiEENS_6detail16IndexBoundsCheckILm4EiEESD_Lm4ESE_iEENS8_INS9_ISB_SC_Lm3ESE_iEESI_SC_Lm4ESE_iEESJ_NS8_INS9_ISB_SD_Lm0ESE_iEENSH_ILm1EiEESD_Lm1ESE_iEEbT0_iiiiiiiiiiiiii,comdat
.Lfunc_end11:
	.size	_ZN2at6native12_GLOBAL__N_139conv_depthwise2d_forward_kernel_genericIN3c104HalfEiEEvN5torch10headeronly6detail27GenericPackedTensorAccessorINS7_14TensorAccessorINS3_8ArrayRefIlEEKT_Lm3ENS6_16DefaultPtrTraitsEiEENS_6detail16IndexBoundsCheckILm4EiEESD_Lm4ESE_iEENS8_INS9_ISB_SC_Lm3ESE_iEESI_SC_Lm4ESE_iEESJ_NS8_INS9_ISB_SD_Lm0ESE_iEENSH_ILm1EiEESD_Lm1ESE_iEEbT0_iiiiiiiiiiiiii, .Lfunc_end11-_ZN2at6native12_GLOBAL__N_139conv_depthwise2d_forward_kernel_genericIN3c104HalfEiEEvN5torch10headeronly6detail27GenericPackedTensorAccessorINS7_14TensorAccessorINS3_8ArrayRefIlEEKT_Lm3ENS6_16DefaultPtrTraitsEiEENS_6detail16IndexBoundsCheckILm4EiEESD_Lm4ESE_iEENS8_INS9_ISB_SC_Lm3ESE_iEESI_SC_Lm4ESE_iEESJ_NS8_INS9_ISB_SD_Lm0ESE_iEENSH_ILm1EiEESD_Lm1ESE_iEEbT0_iiiiiiiiiiiiii
                                        ; -- End function
	.set _ZN2at6native12_GLOBAL__N_139conv_depthwise2d_forward_kernel_genericIN3c104HalfEiEEvN5torch10headeronly6detail27GenericPackedTensorAccessorINS7_14TensorAccessorINS3_8ArrayRefIlEEKT_Lm3ENS6_16DefaultPtrTraitsEiEENS_6detail16IndexBoundsCheckILm4EiEESD_Lm4ESE_iEENS8_INS9_ISB_SC_Lm3ESE_iEESI_SC_Lm4ESE_iEESJ_NS8_INS9_ISB_SD_Lm0ESE_iEENSH_ILm1EiEESD_Lm1ESE_iEEbT0_iiiiiiiiiiiiii.num_vgpr, 23
	.set _ZN2at6native12_GLOBAL__N_139conv_depthwise2d_forward_kernel_genericIN3c104HalfEiEEvN5torch10headeronly6detail27GenericPackedTensorAccessorINS7_14TensorAccessorINS3_8ArrayRefIlEEKT_Lm3ENS6_16DefaultPtrTraitsEiEENS_6detail16IndexBoundsCheckILm4EiEESD_Lm4ESE_iEENS8_INS9_ISB_SC_Lm3ESE_iEESI_SC_Lm4ESE_iEESJ_NS8_INS9_ISB_SD_Lm0ESE_iEENSH_ILm1EiEESD_Lm1ESE_iEEbT0_iiiiiiiiiiiiii.num_agpr, 0
	.set _ZN2at6native12_GLOBAL__N_139conv_depthwise2d_forward_kernel_genericIN3c104HalfEiEEvN5torch10headeronly6detail27GenericPackedTensorAccessorINS7_14TensorAccessorINS3_8ArrayRefIlEEKT_Lm3ENS6_16DefaultPtrTraitsEiEENS_6detail16IndexBoundsCheckILm4EiEESD_Lm4ESE_iEENS8_INS9_ISB_SC_Lm3ESE_iEESI_SC_Lm4ESE_iEESJ_NS8_INS9_ISB_SD_Lm0ESE_iEENSH_ILm1EiEESD_Lm1ESE_iEEbT0_iiiiiiiiiiiiii.numbered_sgpr, 60
	.set _ZN2at6native12_GLOBAL__N_139conv_depthwise2d_forward_kernel_genericIN3c104HalfEiEEvN5torch10headeronly6detail27GenericPackedTensorAccessorINS7_14TensorAccessorINS3_8ArrayRefIlEEKT_Lm3ENS6_16DefaultPtrTraitsEiEENS_6detail16IndexBoundsCheckILm4EiEESD_Lm4ESE_iEENS8_INS9_ISB_SC_Lm3ESE_iEESI_SC_Lm4ESE_iEESJ_NS8_INS9_ISB_SD_Lm0ESE_iEENSH_ILm1EiEESD_Lm1ESE_iEEbT0_iiiiiiiiiiiiii.num_named_barrier, 0
	.set _ZN2at6native12_GLOBAL__N_139conv_depthwise2d_forward_kernel_genericIN3c104HalfEiEEvN5torch10headeronly6detail27GenericPackedTensorAccessorINS7_14TensorAccessorINS3_8ArrayRefIlEEKT_Lm3ENS6_16DefaultPtrTraitsEiEENS_6detail16IndexBoundsCheckILm4EiEESD_Lm4ESE_iEENS8_INS9_ISB_SC_Lm3ESE_iEESI_SC_Lm4ESE_iEESJ_NS8_INS9_ISB_SD_Lm0ESE_iEENSH_ILm1EiEESD_Lm1ESE_iEEbT0_iiiiiiiiiiiiii.private_seg_size, 0
	.set _ZN2at6native12_GLOBAL__N_139conv_depthwise2d_forward_kernel_genericIN3c104HalfEiEEvN5torch10headeronly6detail27GenericPackedTensorAccessorINS7_14TensorAccessorINS3_8ArrayRefIlEEKT_Lm3ENS6_16DefaultPtrTraitsEiEENS_6detail16IndexBoundsCheckILm4EiEESD_Lm4ESE_iEENS8_INS9_ISB_SC_Lm3ESE_iEESI_SC_Lm4ESE_iEESJ_NS8_INS9_ISB_SD_Lm0ESE_iEENSH_ILm1EiEESD_Lm1ESE_iEEbT0_iiiiiiiiiiiiii.uses_vcc, 1
	.set _ZN2at6native12_GLOBAL__N_139conv_depthwise2d_forward_kernel_genericIN3c104HalfEiEEvN5torch10headeronly6detail27GenericPackedTensorAccessorINS7_14TensorAccessorINS3_8ArrayRefIlEEKT_Lm3ENS6_16DefaultPtrTraitsEiEENS_6detail16IndexBoundsCheckILm4EiEESD_Lm4ESE_iEENS8_INS9_ISB_SC_Lm3ESE_iEESI_SC_Lm4ESE_iEESJ_NS8_INS9_ISB_SD_Lm0ESE_iEENSH_ILm1EiEESD_Lm1ESE_iEEbT0_iiiiiiiiiiiiii.uses_flat_scratch, 0
	.set _ZN2at6native12_GLOBAL__N_139conv_depthwise2d_forward_kernel_genericIN3c104HalfEiEEvN5torch10headeronly6detail27GenericPackedTensorAccessorINS7_14TensorAccessorINS3_8ArrayRefIlEEKT_Lm3ENS6_16DefaultPtrTraitsEiEENS_6detail16IndexBoundsCheckILm4EiEESD_Lm4ESE_iEENS8_INS9_ISB_SC_Lm3ESE_iEESI_SC_Lm4ESE_iEESJ_NS8_INS9_ISB_SD_Lm0ESE_iEENSH_ILm1EiEESD_Lm1ESE_iEEbT0_iiiiiiiiiiiiii.has_dyn_sized_stack, 0
	.set _ZN2at6native12_GLOBAL__N_139conv_depthwise2d_forward_kernel_genericIN3c104HalfEiEEvN5torch10headeronly6detail27GenericPackedTensorAccessorINS7_14TensorAccessorINS3_8ArrayRefIlEEKT_Lm3ENS6_16DefaultPtrTraitsEiEENS_6detail16IndexBoundsCheckILm4EiEESD_Lm4ESE_iEENS8_INS9_ISB_SC_Lm3ESE_iEESI_SC_Lm4ESE_iEESJ_NS8_INS9_ISB_SD_Lm0ESE_iEENSH_ILm1EiEESD_Lm1ESE_iEEbT0_iiiiiiiiiiiiii.has_recursion, 0
	.set _ZN2at6native12_GLOBAL__N_139conv_depthwise2d_forward_kernel_genericIN3c104HalfEiEEvN5torch10headeronly6detail27GenericPackedTensorAccessorINS7_14TensorAccessorINS3_8ArrayRefIlEEKT_Lm3ENS6_16DefaultPtrTraitsEiEENS_6detail16IndexBoundsCheckILm4EiEESD_Lm4ESE_iEENS8_INS9_ISB_SC_Lm3ESE_iEESI_SC_Lm4ESE_iEESJ_NS8_INS9_ISB_SD_Lm0ESE_iEENSH_ILm1EiEESD_Lm1ESE_iEEbT0_iiiiiiiiiiiiii.has_indirect_call, 0
	.section	.AMDGPU.csdata,"",@progbits
; Kernel info:
; codeLenInByte = 1896
; TotalNumSgprs: 64
; NumVgprs: 23
; ScratchSize: 0
; MemoryBound: 0
; FloatMode: 240
; IeeeMode: 1
; LDSByteSize: 0 bytes/workgroup (compile time only)
; SGPRBlocks: 7
; VGPRBlocks: 5
; NumSGPRsForWavesPerEU: 64
; NumVGPRsForWavesPerEU: 23
; Occupancy: 10
; WaveLimiterHint : 0
; COMPUTE_PGM_RSRC2:SCRATCH_EN: 0
; COMPUTE_PGM_RSRC2:USER_SGPR: 6
; COMPUTE_PGM_RSRC2:TRAP_HANDLER: 0
; COMPUTE_PGM_RSRC2:TGID_X_EN: 1
; COMPUTE_PGM_RSRC2:TGID_Y_EN: 0
; COMPUTE_PGM_RSRC2:TGID_Z_EN: 0
; COMPUTE_PGM_RSRC2:TIDIG_COMP_CNT: 0
	.section	.text._ZN2at6native12_GLOBAL__N_131conv_depthwise2d_forward_kernelILi5EN3c108BFloat16EiEEvN5torch10headeronly6detail27GenericPackedTensorAccessorINS7_14TensorAccessorINS3_8ArrayRefIlEEKT0_Lm3ENS6_16DefaultPtrTraitsEiEENS_6detail16IndexBoundsCheckILm4EiEESD_Lm4ESE_iEENS8_INS9_ISB_SC_Lm3ESE_iEESI_SC_Lm4ESE_iEESJ_NS8_INS9_ISB_SD_Lm0ESE_iEENSH_ILm1EiEESD_Lm1ESE_iEEbT1_iiiiiiiiiiiiii,"axG",@progbits,_ZN2at6native12_GLOBAL__N_131conv_depthwise2d_forward_kernelILi5EN3c108BFloat16EiEEvN5torch10headeronly6detail27GenericPackedTensorAccessorINS7_14TensorAccessorINS3_8ArrayRefIlEEKT0_Lm3ENS6_16DefaultPtrTraitsEiEENS_6detail16IndexBoundsCheckILm4EiEESD_Lm4ESE_iEENS8_INS9_ISB_SC_Lm3ESE_iEESI_SC_Lm4ESE_iEESJ_NS8_INS9_ISB_SD_Lm0ESE_iEENSH_ILm1EiEESD_Lm1ESE_iEEbT1_iiiiiiiiiiiiii,comdat
	.globl	_ZN2at6native12_GLOBAL__N_131conv_depthwise2d_forward_kernelILi5EN3c108BFloat16EiEEvN5torch10headeronly6detail27GenericPackedTensorAccessorINS7_14TensorAccessorINS3_8ArrayRefIlEEKT0_Lm3ENS6_16DefaultPtrTraitsEiEENS_6detail16IndexBoundsCheckILm4EiEESD_Lm4ESE_iEENS8_INS9_ISB_SC_Lm3ESE_iEESI_SC_Lm4ESE_iEESJ_NS8_INS9_ISB_SD_Lm0ESE_iEENSH_ILm1EiEESD_Lm1ESE_iEEbT1_iiiiiiiiiiiiii ; -- Begin function _ZN2at6native12_GLOBAL__N_131conv_depthwise2d_forward_kernelILi5EN3c108BFloat16EiEEvN5torch10headeronly6detail27GenericPackedTensorAccessorINS7_14TensorAccessorINS3_8ArrayRefIlEEKT0_Lm3ENS6_16DefaultPtrTraitsEiEENS_6detail16IndexBoundsCheckILm4EiEESD_Lm4ESE_iEENS8_INS9_ISB_SC_Lm3ESE_iEESI_SC_Lm4ESE_iEESJ_NS8_INS9_ISB_SD_Lm0ESE_iEENSH_ILm1EiEESD_Lm1ESE_iEEbT1_iiiiiiiiiiiiii
	.p2align	8
	.type	_ZN2at6native12_GLOBAL__N_131conv_depthwise2d_forward_kernelILi5EN3c108BFloat16EiEEvN5torch10headeronly6detail27GenericPackedTensorAccessorINS7_14TensorAccessorINS3_8ArrayRefIlEEKT0_Lm3ENS6_16DefaultPtrTraitsEiEENS_6detail16IndexBoundsCheckILm4EiEESD_Lm4ESE_iEENS8_INS9_ISB_SC_Lm3ESE_iEESI_SC_Lm4ESE_iEESJ_NS8_INS9_ISB_SD_Lm0ESE_iEENSH_ILm1EiEESD_Lm1ESE_iEEbT1_iiiiiiiiiiiiii,@function
_ZN2at6native12_GLOBAL__N_131conv_depthwise2d_forward_kernelILi5EN3c108BFloat16EiEEvN5torch10headeronly6detail27GenericPackedTensorAccessorINS7_14TensorAccessorINS3_8ArrayRefIlEEKT0_Lm3ENS6_16DefaultPtrTraitsEiEENS_6detail16IndexBoundsCheckILm4EiEESD_Lm4ESE_iEENS8_INS9_ISB_SC_Lm3ESE_iEESI_SC_Lm4ESE_iEESJ_NS8_INS9_ISB_SD_Lm0ESE_iEENSH_ILm1EiEESD_Lm1ESE_iEEbT1_iiiiiiiiiiiiii: ; @_ZN2at6native12_GLOBAL__N_131conv_depthwise2d_forward_kernelILi5EN3c108BFloat16EiEEvN5torch10headeronly6detail27GenericPackedTensorAccessorINS7_14TensorAccessorINS3_8ArrayRefIlEEKT0_Lm3ENS6_16DefaultPtrTraitsEiEENS_6detail16IndexBoundsCheckILm4EiEESD_Lm4ESE_iEENS8_INS9_ISB_SC_Lm3ESE_iEESI_SC_Lm4ESE_iEESJ_NS8_INS9_ISB_SD_Lm0ESE_iEENSH_ILm1EiEESD_Lm1ESE_iEEbT1_iiiiiiiiiiiiii
; %bb.0:
	s_load_dword s0, s[4:5], 0xd4
	s_load_dwordx16 s[8:23], s[4:5], 0x88
	s_add_u32 s2, s4, 0xc8
	s_addc_u32 s3, s5, 0
	v_mov_b32_e32 v7, 0
	s_waitcnt lgkmcnt(0)
	s_and_b32 s7, s0, 0xffff
	s_mul_hi_u32 s33, s7, s6
	s_mul_i32 s40, s7, s6
	v_mov_b32_e32 v2, s33
	v_add_co_u32_e32 v1, vcc, s40, v0
	v_addc_co_u32_e32 v2, vcc, 0, v2, vcc
	s_ashr_i32 s25, s9, 31
	s_mov_b32 s24, s9
	v_cmp_gt_i64_e32 vcc, s[24:25], v[1:2]
	s_and_saveexec_b64 s[0:1], vcc
	s_cbranch_execz .LBB12_107
; %bb.1:
	s_bitcmp1_b32 s8, 0
	s_cselect_b64 s[8:9], -1, 0
	s_cmp_lg_u32 s11, 1
	s_cselect_b64 s[0:1], -1, 0
	s_abs_i32 s41, s14
	v_cvt_f32_u32_e32 v3, s41
	s_abs_i32 s43, s15
	v_cvt_f32_u32_e32 v4, s43
	s_load_dwordx2 s[26:27], s[4:5], 0x0
	s_load_dwordx2 s[34:35], s[4:5], 0x28
	;; [unrolled: 1-line block ×4, first 2 shown]
	s_load_dword s6, s[2:3], 0x0
	v_rcp_iflag_f32_e32 v3, v3
	s_sub_i32 s2, 0, s41
	v_rcp_iflag_f32_e32 v4, v4
	s_abs_i32 s44, s10
	v_mul_f32_e32 v3, 0x4f7ffffe, v3
	v_cvt_u32_f32_e32 v3, v3
	v_cvt_f32_u32_e32 v6, s44
	v_mul_f32_e32 v4, 0x4f7ffffe, v4
	v_cvt_u32_f32_e32 v4, v4
	v_mul_lo_u32 v5, s2, v3
	v_rcp_iflag_f32_e32 v6, v6
	s_sub_i32 s2, 0, s43
	s_abs_i32 s46, s11
	v_mul_hi_u32 v5, v3, v5
	v_mul_lo_u32 v9, s2, v4
	s_sub_i32 s2, 0, s44
	s_ashr_i32 s48, s10, 31
	v_add_u32_e32 v8, v3, v5
	v_mul_f32_e32 v5, 0x4f7ffffe, v6
	v_cvt_f32_u32_e32 v6, s46
	v_mul_hi_u32 v3, v4, v9
	v_cvt_u32_f32_e32 v5, v5
	s_ashr_i32 s11, s11, 31
	v_rcp_iflag_f32_e32 v6, v6
	v_add_u32_e32 v9, v4, v3
	v_mul_lo_u32 v10, s2, v5
	s_sub_i32 s2, 0, s46
	v_mul_f32_e32 v4, 0x4f7ffffe, v6
	v_cvt_u32_f32_e32 v4, v4
	s_mul_i32 s42, s17, s16
	s_waitcnt lgkmcnt(0)
	s_mul_i32 s16, s6, s7
	s_ashr_i32 s45, s14, 31
	v_readfirstlane_b32 s3, v4
	s_mul_i32 s2, s2, s3
	s_mul_hi_u32 s2, s3, s2
	s_add_i32 s49, s3, s2
	s_mul_hi_u32 s3, s44, s49
	s_mul_i32 s4, s3, s46
	s_sub_i32 s4, s44, s4
	s_ashr_i32 s47, s15, 31
	s_xor_b32 s2, s48, s11
	s_add_i32 s5, s3, 1
	s_sub_i32 s6, s4, s46
	v_mul_hi_u32 v3, v5, v10
	s_cmp_ge_u32 s4, s46
	s_cselect_b32 s3, s5, s3
	s_cselect_b32 s4, s6, s4
	s_add_i32 s5, s3, 1
	v_lshlrev_b64 v[1:2], 1, v[1:2]
	s_cmp_ge_u32 s4, s46
	v_add_u32_e32 v10, v5, v3
	s_cselect_b32 s3, s5, s3
	v_mov_b32_e32 v3, s35
	v_add_co_u32_e32 v1, vcc, s34, v1
	s_mov_b32 s17, 0
	s_xor_b32 s3, s3, s2
	v_addc_co_u32_e32 v2, vcc, v3, v2, vcc
	v_cndmask_b32_e64 v3, 0, 1, s[0:1]
	s_sub_i32 s50, s3, s2
	s_lshl_b64 s[34:35], s[16:17], 1
	s_sub_i32 s14, 0, s14
	s_mov_b64 s[36:37], 0
	s_movk_i32 s17, 0x7fff
	v_cmp_ne_u32_e64 s[0:1], 1, v3
	v_mov_b32_e32 v11, 0x7fc0
	s_branch .LBB12_4
.LBB12_2:                               ;   in Loop: Header=BB12_4 Depth=1
	s_or_b64 exec, exec, s[2:3]
.LBB12_3:                               ;   in Loop: Header=BB12_4 Depth=1
	s_or_b64 exec, exec, s[6:7]
	v_bfe_u32 v3, v12, 16, 1
	v_add3_u32 v3, v12, v3, s17
	v_cmp_o_f32_e32 vcc, v12, v12
	v_cndmask_b32_sdwa v3, v11, v3, vcc dst_sel:DWORD dst_unused:UNUSED_PAD src0_sel:DWORD src1_sel:WORD_1
	v_add_co_u32_e32 v0, vcc, s16, v0
	v_addc_co_u32_e32 v7, vcc, 0, v7, vcc
	global_store_short v[1:2], v3, off
	v_mov_b32_e32 v4, s33
	v_add_co_u32_e32 v3, vcc, s40, v0
	v_addc_co_u32_e32 v4, vcc, v4, v7, vcc
	v_cmp_le_i64_e32 vcc, s[24:25], v[3:4]
	v_mov_b32_e32 v3, s35
	s_or_b64 s[36:37], vcc, s[36:37]
	v_add_co_u32_e32 v1, vcc, s34, v1
	v_addc_co_u32_e32 v2, vcc, v2, v3, vcc
	s_andn2_b64 exec, exec, s[36:37]
	s_cbranch_execz .LBB12_107
.LBB12_4:                               ; =>This Inner Loop Header: Depth=1
	v_add_co_u32_e32 v3, vcc, s40, v0
	v_sub_u32_e32 v4, 0, v3
	v_max_i32_e32 v4, v3, v4
	v_mul_hi_u32 v5, v4, v8
	v_ashrrev_i32_e32 v12, 31, v3
	v_xor_b32_e32 v12, s45, v12
	s_mov_b32 s2, s10
	v_mul_lo_u32 v6, v5, s41
	v_add_u32_e32 v13, 1, v5
	v_sub_u32_e32 v4, v4, v6
	v_cmp_le_u32_e32 vcc, s41, v4
	v_subrev_u32_e32 v6, s41, v4
	v_cndmask_b32_e32 v5, v5, v13, vcc
	v_cndmask_b32_e32 v4, v4, v6, vcc
	v_add_u32_e32 v6, 1, v5
	v_cmp_le_u32_e32 vcc, s41, v4
	v_cndmask_b32_e32 v4, v5, v6, vcc
	v_xor_b32_e32 v4, v4, v12
	v_sub_u32_e32 v13, v4, v12
	v_sub_u32_e32 v4, 0, v13
	v_max_i32_e32 v4, v13, v4
	v_mul_hi_u32 v5, v4, v9
	v_ashrrev_i32_e32 v12, 31, v13
	v_xor_b32_e32 v12, s47, v12
	v_mul_lo_u32 v6, v5, s43
	v_add_u32_e32 v14, 1, v5
	v_sub_u32_e32 v4, v4, v6
	v_cmp_le_u32_e32 vcc, s43, v4
	v_subrev_u32_e32 v6, s43, v4
	v_cndmask_b32_e32 v5, v5, v14, vcc
	v_cndmask_b32_e32 v4, v4, v6, vcc
	v_add_u32_e32 v6, 1, v5
	v_cmp_le_u32_e32 vcc, s43, v4
	v_cndmask_b32_e32 v4, v5, v6, vcc
	v_xor_b32_e32 v4, v4, v12
	v_sub_u32_e32 v14, v4, v12
	v_sub_u32_e32 v4, 0, v14
	v_max_i32_e32 v4, v14, v4
	v_mul_hi_u32 v5, v4, v10
	v_ashrrev_i32_e32 v12, 31, v14
	v_xor_b32_e32 v12, s48, v12
	v_mul_lo_u32 v6, v5, s44
	v_add_u32_e32 v15, 1, v5
	v_sub_u32_e32 v4, v4, v6
	v_cmp_le_u32_e32 vcc, s44, v4
	v_subrev_u32_e32 v6, s44, v4
	v_cndmask_b32_e32 v5, v5, v15, vcc
	v_cndmask_b32_e32 v4, v4, v6, vcc
	v_add_u32_e32 v6, 1, v5
	v_cmp_le_u32_e32 vcc, s44, v4
	v_cndmask_b32_e32 v4, v5, v6, vcc
	v_xor_b32_e32 v4, v4, v12
	v_sub_u32_e32 v15, v4, v12
	v_mul_lo_u32 v4, v15, s10
	s_and_b64 vcc, exec, s[0:1]
	v_sub_u32_e32 v4, v14, v4
	v_ashrrev_i32_e32 v5, 31, v4
	v_mov_b32_e32 v6, v4
	s_cbranch_vccnz .LBB12_6
; %bb.5:                                ;   in Loop: Header=BB12_4 Depth=1
	v_sub_u32_e32 v6, 0, v4
	v_max_i32_e32 v6, v4, v6
	v_mul_hi_u32 v12, v6, s49
	v_xor_b32_e32 v17, s11, v5
	s_mov_b32 s2, s50
	v_mul_lo_u32 v16, v12, s46
	v_add_u32_e32 v18, 1, v12
	v_sub_u32_e32 v6, v6, v16
	v_cmp_le_u32_e32 vcc, s46, v6
	v_subrev_u32_e32 v16, s46, v6
	v_cndmask_b32_e32 v12, v12, v18, vcc
	v_cndmask_b32_e32 v6, v6, v16, vcc
	v_add_u32_e32 v16, 1, v12
	v_cmp_le_u32_e32 vcc, s46, v6
	v_cndmask_b32_e32 v6, v12, v16, vcc
	v_xor_b32_e32 v6, v6, v17
	v_sub_u32_e32 v6, v6, v17
.LBB12_6:                               ;   in Loop: Header=BB12_4 Depth=1
	s_andn2_b64 vcc, exec, s[8:9]
	v_mov_b32_e32 v12, 0
	s_cbranch_vccnz .LBB12_8
; %bb.7:                                ;   in Loop: Header=BB12_4 Depth=1
	v_lshlrev_b64 v[16:17], 1, v[4:5]
	v_mov_b32_e32 v5, s31
	v_add_co_u32_e32 v16, vcc, s30, v16
	v_addc_co_u32_e32 v17, vcc, v5, v17, vcc
	global_load_ushort v5, v[16:17], off
	s_waitcnt vmcnt(0)
	v_lshlrev_b32_e32 v12, 16, v5
.LBB12_8:                               ;   in Loop: Header=BB12_4 Depth=1
	v_mul_lo_u32 v16, v14, s15
	v_mad_u64_u32 v[5:6], s[2:3], s2, v15, v[6:7]
	v_mad_u64_u32 v[14:15], s[2:3], s14, v13, v[3:4]
	v_sub_u32_e32 v3, v13, v16
	v_mul_lo_u32 v6, v3, s19
	v_mul_lo_u32 v16, v5, s13
	;; [unrolled: 1-line block ×4, first 2 shown]
	v_subrev_u32_e32 v17, s21, v6
	v_add_u32_e32 v5, v17, v16
	v_mul_lo_u32 v18, v5, s12
	v_subrev_u32_e32 v5, s20, v4
	v_cmp_lt_i32_e64 s[2:3], -1, v17
	v_cmp_gt_i32_e32 vcc, s13, v17
	s_and_saveexec_b64 s[38:39], s[2:3]
	s_cbranch_execnz .LBB12_13
; %bb.9:                                ;   in Loop: Header=BB12_4 Depth=1
	s_or_b64 exec, exec, s[38:39]
	v_add_u32_e32 v6, s22, v5
	s_and_saveexec_b64 s[38:39], s[2:3]
	s_cbranch_execnz .LBB12_16
.LBB12_10:                              ;   in Loop: Header=BB12_4 Depth=1
	s_or_b64 exec, exec, s[38:39]
	v_add_u32_e32 v13, s22, v6
	s_and_saveexec_b64 s[38:39], s[2:3]
	s_cbranch_execnz .LBB12_19
.LBB12_11:                              ;   in Loop: Header=BB12_4 Depth=1
	s_or_b64 exec, exec, s[38:39]
	v_add_u32_e32 v14, s22, v13
	s_and_saveexec_b64 s[38:39], s[2:3]
	s_cbranch_execnz .LBB12_22
.LBB12_12:                              ;   in Loop: Header=BB12_4 Depth=1
	s_or_b64 exec, exec, s[38:39]
	v_add_u32_e32 v15, s22, v14
	s_and_saveexec_b64 s[6:7], s[2:3]
	s_cbranch_execnz .LBB12_25
	s_branch .LBB12_28
.LBB12_13:                              ;   in Loop: Header=BB12_4 Depth=1
	v_cmp_lt_i32_e64 s[4:5], -1, v5
	v_cmp_gt_i32_e64 s[6:7], s12, v5
	s_and_b64 s[4:5], s[4:5], s[6:7]
	s_and_b64 s[4:5], vcc, s[4:5]
	s_and_saveexec_b64 s[6:7], s[4:5]
	s_cbranch_execz .LBB12_15
; %bb.14:                               ;   in Loop: Header=BB12_4 Depth=1
	v_ashrrev_i32_e32 v4, 31, v3
	v_lshlrev_b64 v[14:15], 1, v[3:4]
	v_add_u32_e32 v13, v5, v18
	v_add_co_u32_e64 v19, s[4:5], s28, v14
	v_ashrrev_i32_e32 v14, 31, v13
	v_mov_b32_e32 v4, s29
	v_lshlrev_b64 v[13:14], 1, v[13:14]
	v_addc_co_u32_e64 v20, s[4:5], v4, v15, s[4:5]
	v_mov_b32_e32 v4, s27
	v_add_co_u32_e64 v13, s[4:5], s26, v13
	v_addc_co_u32_e64 v14, s[4:5], v4, v14, s[4:5]
	global_load_ushort v4, v[13:14], off
	global_load_ushort v6, v[19:20], off
	s_waitcnt vmcnt(1)
	v_lshlrev_b32_e32 v4, 16, v4
	s_waitcnt vmcnt(0)
	v_lshlrev_b32_e32 v6, 16, v6
	v_fmac_f32_e32 v12, v6, v4
.LBB12_15:                              ;   in Loop: Header=BB12_4 Depth=1
	s_or_b64 exec, exec, s[6:7]
	s_or_b64 exec, exec, s[38:39]
	v_add_u32_e32 v6, s22, v5
	s_and_saveexec_b64 s[38:39], s[2:3]
	s_cbranch_execz .LBB12_10
.LBB12_16:                              ;   in Loop: Header=BB12_4 Depth=1
	v_cmp_lt_i32_e64 s[4:5], -1, v6
	v_cmp_gt_i32_e64 s[6:7], s12, v6
	s_and_b64 s[4:5], s[4:5], s[6:7]
	s_and_b64 s[4:5], vcc, s[4:5]
	s_and_saveexec_b64 s[6:7], s[4:5]
	s_cbranch_execz .LBB12_18
; %bb.17:                               ;   in Loop: Header=BB12_4 Depth=1
	v_ashrrev_i32_e32 v4, 31, v3
	v_lshlrev_b64 v[14:15], 1, v[3:4]
	v_add_u32_e32 v13, v6, v18
	v_add_co_u32_e64 v19, s[4:5], s28, v14
	v_ashrrev_i32_e32 v14, 31, v13
	v_mov_b32_e32 v4, s29
	v_lshlrev_b64 v[13:14], 1, v[13:14]
	v_addc_co_u32_e64 v20, s[4:5], v4, v15, s[4:5]
	v_mov_b32_e32 v4, s27
	v_add_co_u32_e64 v13, s[4:5], s26, v13
	v_addc_co_u32_e64 v14, s[4:5], v4, v14, s[4:5]
	global_load_ushort v4, v[13:14], off
	s_nop 0
	global_load_ushort v13, v[19:20], off offset:2
	s_waitcnt vmcnt(1)
	v_lshlrev_b32_e32 v4, 16, v4
	s_waitcnt vmcnt(0)
	v_lshlrev_b32_e32 v13, 16, v13
	v_fmac_f32_e32 v12, v13, v4
.LBB12_18:                              ;   in Loop: Header=BB12_4 Depth=1
	s_or_b64 exec, exec, s[6:7]
	s_or_b64 exec, exec, s[38:39]
	v_add_u32_e32 v13, s22, v6
	s_and_saveexec_b64 s[38:39], s[2:3]
	s_cbranch_execz .LBB12_11
.LBB12_19:                              ;   in Loop: Header=BB12_4 Depth=1
	v_cmp_lt_i32_e64 s[4:5], -1, v13
	v_cmp_gt_i32_e64 s[6:7], s12, v13
	s_and_b64 s[4:5], s[4:5], s[6:7]
	s_and_b64 s[4:5], vcc, s[4:5]
	s_and_saveexec_b64 s[6:7], s[4:5]
	s_cbranch_execz .LBB12_21
; %bb.20:                               ;   in Loop: Header=BB12_4 Depth=1
	v_ashrrev_i32_e32 v4, 31, v3
	v_add_u32_e32 v14, v13, v18
	v_lshlrev_b64 v[19:20], 1, v[3:4]
	v_ashrrev_i32_e32 v15, 31, v14
	v_mov_b32_e32 v4, s29
	v_add_co_u32_e64 v19, s[4:5], s28, v19
	v_lshlrev_b64 v[14:15], 1, v[14:15]
	v_addc_co_u32_e64 v20, s[4:5], v4, v20, s[4:5]
	v_mov_b32_e32 v4, s27
	v_add_co_u32_e64 v14, s[4:5], s26, v14
	v_addc_co_u32_e64 v15, s[4:5], v4, v15, s[4:5]
	global_load_ushort v4, v[14:15], off
	s_nop 0
	global_load_ushort v14, v[19:20], off offset:4
	s_waitcnt vmcnt(1)
	v_lshlrev_b32_e32 v4, 16, v4
	s_waitcnt vmcnt(0)
	v_lshlrev_b32_e32 v14, 16, v14
	v_fmac_f32_e32 v12, v14, v4
.LBB12_21:                              ;   in Loop: Header=BB12_4 Depth=1
	s_or_b64 exec, exec, s[6:7]
	s_or_b64 exec, exec, s[38:39]
	v_add_u32_e32 v14, s22, v13
	s_and_saveexec_b64 s[38:39], s[2:3]
	s_cbranch_execz .LBB12_12
.LBB12_22:                              ;   in Loop: Header=BB12_4 Depth=1
	v_cmp_lt_i32_e64 s[4:5], -1, v14
	v_cmp_gt_i32_e64 s[6:7], s12, v14
	s_and_b64 s[4:5], s[4:5], s[6:7]
	s_and_b64 s[4:5], vcc, s[4:5]
	s_and_saveexec_b64 s[6:7], s[4:5]
	s_cbranch_execz .LBB12_24
; %bb.23:                               ;   in Loop: Header=BB12_4 Depth=1
	v_ashrrev_i32_e32 v4, 31, v3
	v_lshlrev_b64 v[20:21], 1, v[3:4]
	v_add_u32_e32 v19, v14, v18
	v_add_co_u32_e64 v22, s[4:5], s28, v20
	v_ashrrev_i32_e32 v20, 31, v19
	v_mov_b32_e32 v4, s29
	v_lshlrev_b64 v[19:20], 1, v[19:20]
	v_addc_co_u32_e64 v23, s[4:5], v4, v21, s[4:5]
	v_mov_b32_e32 v4, s27
	v_add_co_u32_e64 v19, s[4:5], s26, v19
	v_addc_co_u32_e64 v20, s[4:5], v4, v20, s[4:5]
	global_load_ushort v4, v[19:20], off
	global_load_ushort v15, v[22:23], off offset:6
	s_waitcnt vmcnt(1)
	v_lshlrev_b32_e32 v4, 16, v4
	s_waitcnt vmcnt(0)
	v_lshlrev_b32_e32 v15, 16, v15
	v_fmac_f32_e32 v12, v15, v4
.LBB12_24:                              ;   in Loop: Header=BB12_4 Depth=1
	s_or_b64 exec, exec, s[6:7]
	s_or_b64 exec, exec, s[38:39]
	v_add_u32_e32 v15, s22, v14
	s_and_saveexec_b64 s[6:7], s[2:3]
	s_cbranch_execz .LBB12_28
.LBB12_25:                              ;   in Loop: Header=BB12_4 Depth=1
	v_cmp_lt_i32_e64 s[2:3], -1, v15
	v_cmp_gt_i32_e64 s[4:5], s12, v15
	s_and_b64 s[2:3], s[2:3], s[4:5]
	s_and_b64 s[4:5], vcc, s[2:3]
	s_and_saveexec_b64 s[2:3], s[4:5]
	s_cbranch_execz .LBB12_27
; %bb.26:                               ;   in Loop: Header=BB12_4 Depth=1
	v_ashrrev_i32_e32 v4, 31, v3
	v_lshlrev_b64 v[19:20], 1, v[3:4]
	v_add_u32_e32 v18, v15, v18
	v_add_co_u32_e32 v21, vcc, s28, v19
	v_ashrrev_i32_e32 v19, 31, v18
	v_mov_b32_e32 v4, s29
	v_lshlrev_b64 v[18:19], 1, v[18:19]
	v_addc_co_u32_e32 v22, vcc, v4, v20, vcc
	v_mov_b32_e32 v4, s27
	v_add_co_u32_e32 v18, vcc, s26, v18
	v_addc_co_u32_e32 v19, vcc, v4, v19, vcc
	global_load_ushort v4, v[18:19], off
	global_load_ushort v20, v[21:22], off offset:8
	s_waitcnt vmcnt(1)
	v_lshlrev_b32_e32 v4, 16, v4
	s_waitcnt vmcnt(0)
	v_lshlrev_b32_e32 v18, 16, v20
	v_fmac_f32_e32 v12, v18, v4
.LBB12_27:                              ;   in Loop: Header=BB12_4 Depth=1
	s_or_b64 exec, exec, s[2:3]
.LBB12_28:                              ;   in Loop: Header=BB12_4 Depth=1
	s_or_b64 exec, exec, s[6:7]
	v_add_u32_e32 v17, s23, v17
	v_add_u32_e32 v4, v17, v16
	v_mul_lo_u32 v18, v4, s12
	v_cmp_lt_i32_e64 s[2:3], -1, v17
	v_cmp_gt_i32_e32 vcc, s13, v17
	s_and_saveexec_b64 s[38:39], s[2:3]
	s_cbranch_execnz .LBB12_33
; %bb.29:                               ;   in Loop: Header=BB12_4 Depth=1
	s_or_b64 exec, exec, s[38:39]
	s_and_saveexec_b64 s[38:39], s[2:3]
	s_cbranch_execnz .LBB12_36
.LBB12_30:                              ;   in Loop: Header=BB12_4 Depth=1
	s_or_b64 exec, exec, s[38:39]
	s_and_saveexec_b64 s[38:39], s[2:3]
	s_cbranch_execnz .LBB12_39
.LBB12_31:                              ;   in Loop: Header=BB12_4 Depth=1
	s_or_b64 exec, exec, s[38:39]
	s_and_saveexec_b64 s[38:39], s[2:3]
	s_cbranch_execnz .LBB12_42
.LBB12_32:                              ;   in Loop: Header=BB12_4 Depth=1
	s_or_b64 exec, exec, s[38:39]
	s_and_saveexec_b64 s[6:7], s[2:3]
	s_cbranch_execnz .LBB12_45
	s_branch .LBB12_48
.LBB12_33:                              ;   in Loop: Header=BB12_4 Depth=1
	v_cmp_lt_i32_e64 s[4:5], -1, v5
	v_cmp_gt_i32_e64 s[6:7], s12, v5
	s_and_b64 s[4:5], s[4:5], s[6:7]
	s_and_b64 s[4:5], vcc, s[4:5]
	s_and_saveexec_b64 s[6:7], s[4:5]
	s_cbranch_execz .LBB12_35
; %bb.34:                               ;   in Loop: Header=BB12_4 Depth=1
	v_ashrrev_i32_e32 v4, 31, v3
	v_lshlrev_b64 v[20:21], 1, v[3:4]
	v_add_u32_e32 v19, v5, v18
	v_add_co_u32_e64 v22, s[4:5], s28, v20
	v_ashrrev_i32_e32 v20, 31, v19
	v_mov_b32_e32 v4, s29
	v_lshlrev_b64 v[19:20], 1, v[19:20]
	v_addc_co_u32_e64 v23, s[4:5], v4, v21, s[4:5]
	v_mov_b32_e32 v4, s27
	v_add_co_u32_e64 v19, s[4:5], s26, v19
	v_addc_co_u32_e64 v20, s[4:5], v4, v20, s[4:5]
	global_load_ushort v4, v[19:20], off
	s_nop 0
	global_load_ushort v19, v[22:23], off offset:10
	s_waitcnt vmcnt(1)
	v_lshlrev_b32_e32 v4, 16, v4
	s_waitcnt vmcnt(0)
	v_lshlrev_b32_e32 v19, 16, v19
	v_fmac_f32_e32 v12, v19, v4
.LBB12_35:                              ;   in Loop: Header=BB12_4 Depth=1
	s_or_b64 exec, exec, s[6:7]
	s_or_b64 exec, exec, s[38:39]
	s_and_saveexec_b64 s[38:39], s[2:3]
	s_cbranch_execz .LBB12_30
.LBB12_36:                              ;   in Loop: Header=BB12_4 Depth=1
	v_cmp_lt_i32_e64 s[4:5], -1, v6
	v_cmp_gt_i32_e64 s[6:7], s12, v6
	s_and_b64 s[4:5], s[4:5], s[6:7]
	s_and_b64 s[4:5], vcc, s[4:5]
	s_and_saveexec_b64 s[6:7], s[4:5]
	s_cbranch_execz .LBB12_38
; %bb.37:                               ;   in Loop: Header=BB12_4 Depth=1
	v_ashrrev_i32_e32 v4, 31, v3
	v_lshlrev_b64 v[20:21], 1, v[3:4]
	v_add_u32_e32 v19, v6, v18
	v_add_co_u32_e64 v22, s[4:5], s28, v20
	v_ashrrev_i32_e32 v20, 31, v19
	v_mov_b32_e32 v4, s29
	v_lshlrev_b64 v[19:20], 1, v[19:20]
	v_addc_co_u32_e64 v23, s[4:5], v4, v21, s[4:5]
	v_mov_b32_e32 v4, s27
	v_add_co_u32_e64 v19, s[4:5], s26, v19
	v_addc_co_u32_e64 v20, s[4:5], v4, v20, s[4:5]
	global_load_ushort v4, v[19:20], off
	s_nop 0
	global_load_ushort v19, v[22:23], off offset:12
	s_waitcnt vmcnt(1)
	v_lshlrev_b32_e32 v4, 16, v4
	s_waitcnt vmcnt(0)
	v_lshlrev_b32_e32 v19, 16, v19
	v_fmac_f32_e32 v12, v19, v4
.LBB12_38:                              ;   in Loop: Header=BB12_4 Depth=1
	s_or_b64 exec, exec, s[6:7]
	s_or_b64 exec, exec, s[38:39]
	s_and_saveexec_b64 s[38:39], s[2:3]
	s_cbranch_execz .LBB12_31
.LBB12_39:                              ;   in Loop: Header=BB12_4 Depth=1
	v_cmp_lt_i32_e64 s[4:5], -1, v13
	v_cmp_gt_i32_e64 s[6:7], s12, v13
	s_and_b64 s[4:5], s[4:5], s[6:7]
	s_and_b64 s[4:5], vcc, s[4:5]
	s_and_saveexec_b64 s[6:7], s[4:5]
	s_cbranch_execz .LBB12_41
; %bb.40:                               ;   in Loop: Header=BB12_4 Depth=1
	v_ashrrev_i32_e32 v4, 31, v3
	v_lshlrev_b64 v[20:21], 1, v[3:4]
	v_add_u32_e32 v19, v13, v18
	v_add_co_u32_e64 v22, s[4:5], s28, v20
	v_ashrrev_i32_e32 v20, 31, v19
	v_mov_b32_e32 v4, s29
	v_lshlrev_b64 v[19:20], 1, v[19:20]
	v_addc_co_u32_e64 v23, s[4:5], v4, v21, s[4:5]
	v_mov_b32_e32 v4, s27
	v_add_co_u32_e64 v19, s[4:5], s26, v19
	v_addc_co_u32_e64 v20, s[4:5], v4, v20, s[4:5]
	global_load_ushort v4, v[19:20], off
	s_nop 0
	global_load_ushort v19, v[22:23], off offset:14
	s_waitcnt vmcnt(1)
	v_lshlrev_b32_e32 v4, 16, v4
	s_waitcnt vmcnt(0)
	v_lshlrev_b32_e32 v19, 16, v19
	v_fmac_f32_e32 v12, v19, v4
.LBB12_41:                              ;   in Loop: Header=BB12_4 Depth=1
	s_or_b64 exec, exec, s[6:7]
	s_or_b64 exec, exec, s[38:39]
	s_and_saveexec_b64 s[38:39], s[2:3]
	s_cbranch_execz .LBB12_32
.LBB12_42:                              ;   in Loop: Header=BB12_4 Depth=1
	v_cmp_lt_i32_e64 s[4:5], -1, v14
	v_cmp_gt_i32_e64 s[6:7], s12, v14
	s_and_b64 s[4:5], s[4:5], s[6:7]
	s_and_b64 s[4:5], vcc, s[4:5]
	s_and_saveexec_b64 s[6:7], s[4:5]
	s_cbranch_execz .LBB12_44
; %bb.43:                               ;   in Loop: Header=BB12_4 Depth=1
	v_ashrrev_i32_e32 v4, 31, v3
	v_lshlrev_b64 v[20:21], 1, v[3:4]
	v_add_u32_e32 v19, v14, v18
	v_add_co_u32_e64 v22, s[4:5], s28, v20
	v_ashrrev_i32_e32 v20, 31, v19
	v_mov_b32_e32 v4, s29
	v_lshlrev_b64 v[19:20], 1, v[19:20]
	v_addc_co_u32_e64 v23, s[4:5], v4, v21, s[4:5]
	v_mov_b32_e32 v4, s27
	v_add_co_u32_e64 v19, s[4:5], s26, v19
	v_addc_co_u32_e64 v20, s[4:5], v4, v20, s[4:5]
	global_load_ushort v4, v[19:20], off
	s_nop 0
	global_load_ushort v19, v[22:23], off offset:16
	s_waitcnt vmcnt(1)
	v_lshlrev_b32_e32 v4, 16, v4
	s_waitcnt vmcnt(0)
	v_lshlrev_b32_e32 v19, 16, v19
	v_fmac_f32_e32 v12, v19, v4
.LBB12_44:                              ;   in Loop: Header=BB12_4 Depth=1
	s_or_b64 exec, exec, s[6:7]
	s_or_b64 exec, exec, s[38:39]
	s_and_saveexec_b64 s[6:7], s[2:3]
	s_cbranch_execz .LBB12_48
.LBB12_45:                              ;   in Loop: Header=BB12_4 Depth=1
	v_cmp_lt_i32_e64 s[2:3], -1, v15
	v_cmp_gt_i32_e64 s[4:5], s12, v15
	s_and_b64 s[2:3], s[2:3], s[4:5]
	s_and_b64 s[4:5], vcc, s[2:3]
	s_and_saveexec_b64 s[2:3], s[4:5]
	s_cbranch_execz .LBB12_47
; %bb.46:                               ;   in Loop: Header=BB12_4 Depth=1
	v_ashrrev_i32_e32 v4, 31, v3
	v_lshlrev_b64 v[19:20], 1, v[3:4]
	v_add_u32_e32 v18, v15, v18
	v_add_co_u32_e32 v21, vcc, s28, v19
	v_ashrrev_i32_e32 v19, 31, v18
	v_mov_b32_e32 v4, s29
	v_lshlrev_b64 v[18:19], 1, v[18:19]
	v_addc_co_u32_e32 v22, vcc, v4, v20, vcc
	v_mov_b32_e32 v4, s27
	v_add_co_u32_e32 v18, vcc, s26, v18
	v_addc_co_u32_e32 v19, vcc, v4, v19, vcc
	global_load_ushort v4, v[18:19], off
	global_load_ushort v20, v[21:22], off offset:18
	s_waitcnt vmcnt(1)
	v_lshlrev_b32_e32 v4, 16, v4
	s_waitcnt vmcnt(0)
	v_lshlrev_b32_e32 v18, 16, v20
	v_fmac_f32_e32 v12, v18, v4
.LBB12_47:                              ;   in Loop: Header=BB12_4 Depth=1
	s_or_b64 exec, exec, s[2:3]
.LBB12_48:                              ;   in Loop: Header=BB12_4 Depth=1
	s_or_b64 exec, exec, s[6:7]
	v_add_u32_e32 v17, s23, v17
	v_add_u32_e32 v4, v17, v16
	v_mul_lo_u32 v18, v4, s12
	v_cmp_lt_i32_e64 s[2:3], -1, v17
	v_cmp_gt_i32_e32 vcc, s13, v17
	s_and_saveexec_b64 s[38:39], s[2:3]
	s_cbranch_execnz .LBB12_53
; %bb.49:                               ;   in Loop: Header=BB12_4 Depth=1
	s_or_b64 exec, exec, s[38:39]
	s_and_saveexec_b64 s[38:39], s[2:3]
	s_cbranch_execnz .LBB12_56
.LBB12_50:                              ;   in Loop: Header=BB12_4 Depth=1
	s_or_b64 exec, exec, s[38:39]
	s_and_saveexec_b64 s[38:39], s[2:3]
	s_cbranch_execnz .LBB12_59
.LBB12_51:                              ;   in Loop: Header=BB12_4 Depth=1
	s_or_b64 exec, exec, s[38:39]
	s_and_saveexec_b64 s[38:39], s[2:3]
	s_cbranch_execnz .LBB12_62
.LBB12_52:                              ;   in Loop: Header=BB12_4 Depth=1
	s_or_b64 exec, exec, s[38:39]
	s_and_saveexec_b64 s[6:7], s[2:3]
	s_cbranch_execnz .LBB12_65
	s_branch .LBB12_68
.LBB12_53:                              ;   in Loop: Header=BB12_4 Depth=1
	v_cmp_lt_i32_e64 s[4:5], -1, v5
	v_cmp_gt_i32_e64 s[6:7], s12, v5
	s_and_b64 s[4:5], s[4:5], s[6:7]
	s_and_b64 s[4:5], vcc, s[4:5]
	s_and_saveexec_b64 s[6:7], s[4:5]
	s_cbranch_execz .LBB12_55
; %bb.54:                               ;   in Loop: Header=BB12_4 Depth=1
	v_ashrrev_i32_e32 v4, 31, v3
	v_lshlrev_b64 v[20:21], 1, v[3:4]
	v_add_u32_e32 v19, v5, v18
	v_add_co_u32_e64 v22, s[4:5], s28, v20
	v_ashrrev_i32_e32 v20, 31, v19
	v_mov_b32_e32 v4, s29
	v_lshlrev_b64 v[19:20], 1, v[19:20]
	v_addc_co_u32_e64 v23, s[4:5], v4, v21, s[4:5]
	v_mov_b32_e32 v4, s27
	v_add_co_u32_e64 v19, s[4:5], s26, v19
	v_addc_co_u32_e64 v20, s[4:5], v4, v20, s[4:5]
	global_load_ushort v4, v[19:20], off
	s_nop 0
	global_load_ushort v19, v[22:23], off offset:20
	s_waitcnt vmcnt(1)
	v_lshlrev_b32_e32 v4, 16, v4
	s_waitcnt vmcnt(0)
	v_lshlrev_b32_e32 v19, 16, v19
	v_fmac_f32_e32 v12, v19, v4
.LBB12_55:                              ;   in Loop: Header=BB12_4 Depth=1
	s_or_b64 exec, exec, s[6:7]
	s_or_b64 exec, exec, s[38:39]
	s_and_saveexec_b64 s[38:39], s[2:3]
	s_cbranch_execz .LBB12_50
.LBB12_56:                              ;   in Loop: Header=BB12_4 Depth=1
	v_cmp_lt_i32_e64 s[4:5], -1, v6
	v_cmp_gt_i32_e64 s[6:7], s12, v6
	s_and_b64 s[4:5], s[4:5], s[6:7]
	s_and_b64 s[4:5], vcc, s[4:5]
	s_and_saveexec_b64 s[6:7], s[4:5]
	s_cbranch_execz .LBB12_58
; %bb.57:                               ;   in Loop: Header=BB12_4 Depth=1
	v_ashrrev_i32_e32 v4, 31, v3
	v_lshlrev_b64 v[20:21], 1, v[3:4]
	v_add_u32_e32 v19, v6, v18
	v_add_co_u32_e64 v22, s[4:5], s28, v20
	v_ashrrev_i32_e32 v20, 31, v19
	v_mov_b32_e32 v4, s29
	v_lshlrev_b64 v[19:20], 1, v[19:20]
	v_addc_co_u32_e64 v23, s[4:5], v4, v21, s[4:5]
	v_mov_b32_e32 v4, s27
	v_add_co_u32_e64 v19, s[4:5], s26, v19
	v_addc_co_u32_e64 v20, s[4:5], v4, v20, s[4:5]
	global_load_ushort v4, v[19:20], off
	s_nop 0
	global_load_ushort v19, v[22:23], off offset:22
	s_waitcnt vmcnt(1)
	v_lshlrev_b32_e32 v4, 16, v4
	s_waitcnt vmcnt(0)
	v_lshlrev_b32_e32 v19, 16, v19
	v_fmac_f32_e32 v12, v19, v4
.LBB12_58:                              ;   in Loop: Header=BB12_4 Depth=1
	s_or_b64 exec, exec, s[6:7]
	s_or_b64 exec, exec, s[38:39]
	s_and_saveexec_b64 s[38:39], s[2:3]
	s_cbranch_execz .LBB12_51
.LBB12_59:                              ;   in Loop: Header=BB12_4 Depth=1
	v_cmp_lt_i32_e64 s[4:5], -1, v13
	v_cmp_gt_i32_e64 s[6:7], s12, v13
	s_and_b64 s[4:5], s[4:5], s[6:7]
	s_and_b64 s[4:5], vcc, s[4:5]
	s_and_saveexec_b64 s[6:7], s[4:5]
	s_cbranch_execz .LBB12_61
; %bb.60:                               ;   in Loop: Header=BB12_4 Depth=1
	v_ashrrev_i32_e32 v4, 31, v3
	v_lshlrev_b64 v[20:21], 1, v[3:4]
	v_add_u32_e32 v19, v13, v18
	v_add_co_u32_e64 v22, s[4:5], s28, v20
	v_ashrrev_i32_e32 v20, 31, v19
	v_mov_b32_e32 v4, s29
	v_lshlrev_b64 v[19:20], 1, v[19:20]
	v_addc_co_u32_e64 v23, s[4:5], v4, v21, s[4:5]
	v_mov_b32_e32 v4, s27
	v_add_co_u32_e64 v19, s[4:5], s26, v19
	v_addc_co_u32_e64 v20, s[4:5], v4, v20, s[4:5]
	global_load_ushort v4, v[19:20], off
	s_nop 0
	global_load_ushort v19, v[22:23], off offset:24
	s_waitcnt vmcnt(1)
	v_lshlrev_b32_e32 v4, 16, v4
	s_waitcnt vmcnt(0)
	v_lshlrev_b32_e32 v19, 16, v19
	v_fmac_f32_e32 v12, v19, v4
.LBB12_61:                              ;   in Loop: Header=BB12_4 Depth=1
	s_or_b64 exec, exec, s[6:7]
	s_or_b64 exec, exec, s[38:39]
	s_and_saveexec_b64 s[38:39], s[2:3]
	s_cbranch_execz .LBB12_52
.LBB12_62:                              ;   in Loop: Header=BB12_4 Depth=1
	v_cmp_lt_i32_e64 s[4:5], -1, v14
	v_cmp_gt_i32_e64 s[6:7], s12, v14
	s_and_b64 s[4:5], s[4:5], s[6:7]
	s_and_b64 s[4:5], vcc, s[4:5]
	s_and_saveexec_b64 s[6:7], s[4:5]
	s_cbranch_execz .LBB12_64
; %bb.63:                               ;   in Loop: Header=BB12_4 Depth=1
	v_ashrrev_i32_e32 v4, 31, v3
	v_lshlrev_b64 v[20:21], 1, v[3:4]
	v_add_u32_e32 v19, v14, v18
	v_add_co_u32_e64 v22, s[4:5], s28, v20
	v_ashrrev_i32_e32 v20, 31, v19
	v_mov_b32_e32 v4, s29
	v_lshlrev_b64 v[19:20], 1, v[19:20]
	v_addc_co_u32_e64 v23, s[4:5], v4, v21, s[4:5]
	v_mov_b32_e32 v4, s27
	v_add_co_u32_e64 v19, s[4:5], s26, v19
	v_addc_co_u32_e64 v20, s[4:5], v4, v20, s[4:5]
	global_load_ushort v4, v[19:20], off
	s_nop 0
	global_load_ushort v19, v[22:23], off offset:26
	s_waitcnt vmcnt(1)
	v_lshlrev_b32_e32 v4, 16, v4
	s_waitcnt vmcnt(0)
	v_lshlrev_b32_e32 v19, 16, v19
	v_fmac_f32_e32 v12, v19, v4
.LBB12_64:                              ;   in Loop: Header=BB12_4 Depth=1
	s_or_b64 exec, exec, s[6:7]
	s_or_b64 exec, exec, s[38:39]
	s_and_saveexec_b64 s[6:7], s[2:3]
	s_cbranch_execz .LBB12_68
.LBB12_65:                              ;   in Loop: Header=BB12_4 Depth=1
	v_cmp_lt_i32_e64 s[2:3], -1, v15
	v_cmp_gt_i32_e64 s[4:5], s12, v15
	s_and_b64 s[2:3], s[2:3], s[4:5]
	s_and_b64 s[4:5], vcc, s[2:3]
	s_and_saveexec_b64 s[2:3], s[4:5]
	s_cbranch_execz .LBB12_67
; %bb.66:                               ;   in Loop: Header=BB12_4 Depth=1
	v_ashrrev_i32_e32 v4, 31, v3
	v_lshlrev_b64 v[19:20], 1, v[3:4]
	v_add_u32_e32 v18, v15, v18
	v_add_co_u32_e32 v21, vcc, s28, v19
	v_ashrrev_i32_e32 v19, 31, v18
	v_mov_b32_e32 v4, s29
	v_lshlrev_b64 v[18:19], 1, v[18:19]
	v_addc_co_u32_e32 v22, vcc, v4, v20, vcc
	v_mov_b32_e32 v4, s27
	v_add_co_u32_e32 v18, vcc, s26, v18
	v_addc_co_u32_e32 v19, vcc, v4, v19, vcc
	global_load_ushort v4, v[18:19], off
	global_load_ushort v20, v[21:22], off offset:28
	s_waitcnt vmcnt(1)
	v_lshlrev_b32_e32 v4, 16, v4
	s_waitcnt vmcnt(0)
	v_lshlrev_b32_e32 v18, 16, v20
	v_fmac_f32_e32 v12, v18, v4
.LBB12_67:                              ;   in Loop: Header=BB12_4 Depth=1
	s_or_b64 exec, exec, s[2:3]
.LBB12_68:                              ;   in Loop: Header=BB12_4 Depth=1
	s_or_b64 exec, exec, s[6:7]
	v_add_u32_e32 v17, s23, v17
	v_add_u32_e32 v4, v17, v16
	v_mul_lo_u32 v18, v4, s12
	v_cmp_lt_i32_e64 s[2:3], -1, v17
	v_cmp_gt_i32_e32 vcc, s13, v17
	s_and_saveexec_b64 s[38:39], s[2:3]
	s_cbranch_execnz .LBB12_73
; %bb.69:                               ;   in Loop: Header=BB12_4 Depth=1
	s_or_b64 exec, exec, s[38:39]
	s_and_saveexec_b64 s[38:39], s[2:3]
	s_cbranch_execnz .LBB12_76
.LBB12_70:                              ;   in Loop: Header=BB12_4 Depth=1
	s_or_b64 exec, exec, s[38:39]
	s_and_saveexec_b64 s[38:39], s[2:3]
	s_cbranch_execnz .LBB12_79
.LBB12_71:                              ;   in Loop: Header=BB12_4 Depth=1
	s_or_b64 exec, exec, s[38:39]
	s_and_saveexec_b64 s[38:39], s[2:3]
	s_cbranch_execnz .LBB12_82
.LBB12_72:                              ;   in Loop: Header=BB12_4 Depth=1
	s_or_b64 exec, exec, s[38:39]
	s_and_saveexec_b64 s[6:7], s[2:3]
	s_cbranch_execnz .LBB12_85
	s_branch .LBB12_88
.LBB12_73:                              ;   in Loop: Header=BB12_4 Depth=1
	v_cmp_lt_i32_e64 s[4:5], -1, v5
	v_cmp_gt_i32_e64 s[6:7], s12, v5
	s_and_b64 s[4:5], s[4:5], s[6:7]
	s_and_b64 s[4:5], vcc, s[4:5]
	s_and_saveexec_b64 s[6:7], s[4:5]
	s_cbranch_execz .LBB12_75
; %bb.74:                               ;   in Loop: Header=BB12_4 Depth=1
	v_ashrrev_i32_e32 v4, 31, v3
	v_lshlrev_b64 v[20:21], 1, v[3:4]
	v_add_u32_e32 v19, v5, v18
	v_add_co_u32_e64 v22, s[4:5], s28, v20
	v_ashrrev_i32_e32 v20, 31, v19
	v_mov_b32_e32 v4, s29
	v_lshlrev_b64 v[19:20], 1, v[19:20]
	v_addc_co_u32_e64 v23, s[4:5], v4, v21, s[4:5]
	v_mov_b32_e32 v4, s27
	v_add_co_u32_e64 v19, s[4:5], s26, v19
	v_addc_co_u32_e64 v20, s[4:5], v4, v20, s[4:5]
	global_load_ushort v4, v[19:20], off
	s_nop 0
	global_load_ushort v19, v[22:23], off offset:30
	s_waitcnt vmcnt(1)
	v_lshlrev_b32_e32 v4, 16, v4
	s_waitcnt vmcnt(0)
	v_lshlrev_b32_e32 v19, 16, v19
	v_fmac_f32_e32 v12, v19, v4
.LBB12_75:                              ;   in Loop: Header=BB12_4 Depth=1
	s_or_b64 exec, exec, s[6:7]
	s_or_b64 exec, exec, s[38:39]
	s_and_saveexec_b64 s[38:39], s[2:3]
	s_cbranch_execz .LBB12_70
.LBB12_76:                              ;   in Loop: Header=BB12_4 Depth=1
	v_cmp_lt_i32_e64 s[4:5], -1, v6
	v_cmp_gt_i32_e64 s[6:7], s12, v6
	s_and_b64 s[4:5], s[4:5], s[6:7]
	s_and_b64 s[4:5], vcc, s[4:5]
	s_and_saveexec_b64 s[6:7], s[4:5]
	s_cbranch_execz .LBB12_78
; %bb.77:                               ;   in Loop: Header=BB12_4 Depth=1
	v_ashrrev_i32_e32 v4, 31, v3
	v_lshlrev_b64 v[20:21], 1, v[3:4]
	v_add_u32_e32 v19, v6, v18
	v_add_co_u32_e64 v22, s[4:5], s28, v20
	v_ashrrev_i32_e32 v20, 31, v19
	v_mov_b32_e32 v4, s29
	v_lshlrev_b64 v[19:20], 1, v[19:20]
	v_addc_co_u32_e64 v23, s[4:5], v4, v21, s[4:5]
	v_mov_b32_e32 v4, s27
	v_add_co_u32_e64 v19, s[4:5], s26, v19
	v_addc_co_u32_e64 v20, s[4:5], v4, v20, s[4:5]
	global_load_ushort v4, v[19:20], off
	s_nop 0
	global_load_ushort v19, v[22:23], off offset:32
	s_waitcnt vmcnt(1)
	v_lshlrev_b32_e32 v4, 16, v4
	s_waitcnt vmcnt(0)
	v_lshlrev_b32_e32 v19, 16, v19
	v_fmac_f32_e32 v12, v19, v4
.LBB12_78:                              ;   in Loop: Header=BB12_4 Depth=1
	s_or_b64 exec, exec, s[6:7]
	s_or_b64 exec, exec, s[38:39]
	s_and_saveexec_b64 s[38:39], s[2:3]
	s_cbranch_execz .LBB12_71
.LBB12_79:                              ;   in Loop: Header=BB12_4 Depth=1
	v_cmp_lt_i32_e64 s[4:5], -1, v13
	v_cmp_gt_i32_e64 s[6:7], s12, v13
	s_and_b64 s[4:5], s[4:5], s[6:7]
	s_and_b64 s[4:5], vcc, s[4:5]
	s_and_saveexec_b64 s[6:7], s[4:5]
	s_cbranch_execz .LBB12_81
; %bb.80:                               ;   in Loop: Header=BB12_4 Depth=1
	v_ashrrev_i32_e32 v4, 31, v3
	v_lshlrev_b64 v[20:21], 1, v[3:4]
	v_add_u32_e32 v19, v13, v18
	v_add_co_u32_e64 v22, s[4:5], s28, v20
	v_ashrrev_i32_e32 v20, 31, v19
	v_mov_b32_e32 v4, s29
	v_lshlrev_b64 v[19:20], 1, v[19:20]
	v_addc_co_u32_e64 v23, s[4:5], v4, v21, s[4:5]
	v_mov_b32_e32 v4, s27
	v_add_co_u32_e64 v19, s[4:5], s26, v19
	v_addc_co_u32_e64 v20, s[4:5], v4, v20, s[4:5]
	global_load_ushort v4, v[19:20], off
	s_nop 0
	global_load_ushort v19, v[22:23], off offset:34
	s_waitcnt vmcnt(1)
	v_lshlrev_b32_e32 v4, 16, v4
	s_waitcnt vmcnt(0)
	v_lshlrev_b32_e32 v19, 16, v19
	v_fmac_f32_e32 v12, v19, v4
.LBB12_81:                              ;   in Loop: Header=BB12_4 Depth=1
	s_or_b64 exec, exec, s[6:7]
	s_or_b64 exec, exec, s[38:39]
	s_and_saveexec_b64 s[38:39], s[2:3]
	s_cbranch_execz .LBB12_72
.LBB12_82:                              ;   in Loop: Header=BB12_4 Depth=1
	v_cmp_lt_i32_e64 s[4:5], -1, v14
	v_cmp_gt_i32_e64 s[6:7], s12, v14
	s_and_b64 s[4:5], s[4:5], s[6:7]
	s_and_b64 s[4:5], vcc, s[4:5]
	s_and_saveexec_b64 s[6:7], s[4:5]
	s_cbranch_execz .LBB12_84
; %bb.83:                               ;   in Loop: Header=BB12_4 Depth=1
	v_ashrrev_i32_e32 v4, 31, v3
	v_lshlrev_b64 v[20:21], 1, v[3:4]
	v_add_u32_e32 v19, v14, v18
	v_add_co_u32_e64 v22, s[4:5], s28, v20
	v_ashrrev_i32_e32 v20, 31, v19
	v_mov_b32_e32 v4, s29
	v_lshlrev_b64 v[19:20], 1, v[19:20]
	v_addc_co_u32_e64 v23, s[4:5], v4, v21, s[4:5]
	v_mov_b32_e32 v4, s27
	v_add_co_u32_e64 v19, s[4:5], s26, v19
	v_addc_co_u32_e64 v20, s[4:5], v4, v20, s[4:5]
	global_load_ushort v4, v[19:20], off
	s_nop 0
	global_load_ushort v19, v[22:23], off offset:36
	s_waitcnt vmcnt(1)
	v_lshlrev_b32_e32 v4, 16, v4
	s_waitcnt vmcnt(0)
	v_lshlrev_b32_e32 v19, 16, v19
	v_fmac_f32_e32 v12, v19, v4
.LBB12_84:                              ;   in Loop: Header=BB12_4 Depth=1
	s_or_b64 exec, exec, s[6:7]
	s_or_b64 exec, exec, s[38:39]
	s_and_saveexec_b64 s[6:7], s[2:3]
	s_cbranch_execz .LBB12_88
.LBB12_85:                              ;   in Loop: Header=BB12_4 Depth=1
	v_cmp_lt_i32_e64 s[2:3], -1, v15
	v_cmp_gt_i32_e64 s[4:5], s12, v15
	s_and_b64 s[2:3], s[2:3], s[4:5]
	s_and_b64 s[4:5], vcc, s[2:3]
	s_and_saveexec_b64 s[2:3], s[4:5]
	s_cbranch_execz .LBB12_87
; %bb.86:                               ;   in Loop: Header=BB12_4 Depth=1
	v_ashrrev_i32_e32 v4, 31, v3
	v_lshlrev_b64 v[19:20], 1, v[3:4]
	v_add_u32_e32 v18, v15, v18
	v_add_co_u32_e32 v21, vcc, s28, v19
	v_ashrrev_i32_e32 v19, 31, v18
	v_mov_b32_e32 v4, s29
	v_lshlrev_b64 v[18:19], 1, v[18:19]
	v_addc_co_u32_e32 v22, vcc, v4, v20, vcc
	v_mov_b32_e32 v4, s27
	v_add_co_u32_e32 v18, vcc, s26, v18
	v_addc_co_u32_e32 v19, vcc, v4, v19, vcc
	global_load_ushort v4, v[18:19], off
	global_load_ushort v20, v[21:22], off offset:38
	s_waitcnt vmcnt(1)
	v_lshlrev_b32_e32 v4, 16, v4
	s_waitcnt vmcnt(0)
	v_lshlrev_b32_e32 v18, 16, v20
	v_fmac_f32_e32 v12, v18, v4
.LBB12_87:                              ;   in Loop: Header=BB12_4 Depth=1
	s_or_b64 exec, exec, s[2:3]
.LBB12_88:                              ;   in Loop: Header=BB12_4 Depth=1
	s_or_b64 exec, exec, s[6:7]
	v_add_u32_e32 v4, s23, v17
	v_add_u32_e32 v16, v4, v16
	v_mul_lo_u32 v16, v16, s12
	v_cmp_lt_i32_e64 s[2:3], -1, v4
	v_cmp_gt_i32_e32 vcc, s13, v4
	s_and_saveexec_b64 s[38:39], s[2:3]
	s_cbranch_execnz .LBB12_93
; %bb.89:                               ;   in Loop: Header=BB12_4 Depth=1
	s_or_b64 exec, exec, s[38:39]
	s_and_saveexec_b64 s[38:39], s[2:3]
	s_cbranch_execnz .LBB12_96
.LBB12_90:                              ;   in Loop: Header=BB12_4 Depth=1
	s_or_b64 exec, exec, s[38:39]
	s_and_saveexec_b64 s[38:39], s[2:3]
	s_cbranch_execnz .LBB12_99
.LBB12_91:                              ;   in Loop: Header=BB12_4 Depth=1
	s_or_b64 exec, exec, s[38:39]
	s_and_saveexec_b64 s[38:39], s[2:3]
	s_cbranch_execnz .LBB12_102
.LBB12_92:                              ;   in Loop: Header=BB12_4 Depth=1
	s_or_b64 exec, exec, s[38:39]
	s_and_saveexec_b64 s[6:7], s[2:3]
	s_cbranch_execz .LBB12_3
	s_branch .LBB12_105
.LBB12_93:                              ;   in Loop: Header=BB12_4 Depth=1
	v_cmp_lt_i32_e64 s[4:5], -1, v5
	v_cmp_gt_i32_e64 s[6:7], s12, v5
	s_and_b64 s[4:5], s[4:5], s[6:7]
	s_and_b64 s[4:5], vcc, s[4:5]
	s_and_saveexec_b64 s[6:7], s[4:5]
	s_cbranch_execz .LBB12_95
; %bb.94:                               ;   in Loop: Header=BB12_4 Depth=1
	v_ashrrev_i32_e32 v4, 31, v3
	v_add_u32_e32 v17, v5, v16
	v_lshlrev_b64 v[4:5], 1, v[3:4]
	v_mov_b32_e32 v18, s29
	v_add_co_u32_e64 v4, s[4:5], s28, v4
	v_addc_co_u32_e64 v5, s[4:5], v18, v5, s[4:5]
	v_ashrrev_i32_e32 v18, 31, v17
	v_lshlrev_b64 v[17:18], 1, v[17:18]
	v_mov_b32_e32 v19, s27
	v_add_co_u32_e64 v17, s[4:5], s26, v17
	v_addc_co_u32_e64 v18, s[4:5], v19, v18, s[4:5]
	global_load_ushort v17, v[17:18], off
	s_nop 0
	global_load_ushort v4, v[4:5], off offset:40
	s_waitcnt vmcnt(1)
	v_lshlrev_b32_e32 v5, 16, v17
	s_waitcnt vmcnt(0)
	v_lshlrev_b32_e32 v4, 16, v4
	v_fmac_f32_e32 v12, v4, v5
.LBB12_95:                              ;   in Loop: Header=BB12_4 Depth=1
	s_or_b64 exec, exec, s[6:7]
	s_or_b64 exec, exec, s[38:39]
	s_and_saveexec_b64 s[38:39], s[2:3]
	s_cbranch_execz .LBB12_90
.LBB12_96:                              ;   in Loop: Header=BB12_4 Depth=1
	v_cmp_lt_i32_e64 s[4:5], -1, v6
	v_cmp_gt_i32_e64 s[6:7], s12, v6
	s_and_b64 s[4:5], s[4:5], s[6:7]
	s_and_b64 s[4:5], vcc, s[4:5]
	s_and_saveexec_b64 s[6:7], s[4:5]
	s_cbranch_execz .LBB12_98
; %bb.97:                               ;   in Loop: Header=BB12_4 Depth=1
	v_ashrrev_i32_e32 v4, 31, v3
	v_lshlrev_b64 v[17:18], 1, v[3:4]
	v_add_u32_e32 v5, v6, v16
	v_mov_b32_e32 v4, s29
	v_add_co_u32_e64 v17, s[4:5], s28, v17
	v_ashrrev_i32_e32 v6, 31, v5
	v_addc_co_u32_e64 v18, s[4:5], v4, v18, s[4:5]
	v_lshlrev_b64 v[4:5], 1, v[5:6]
	v_mov_b32_e32 v6, s27
	v_add_co_u32_e64 v4, s[4:5], s26, v4
	v_addc_co_u32_e64 v5, s[4:5], v6, v5, s[4:5]
	global_load_ushort v4, v[4:5], off
	s_nop 0
	global_load_ushort v5, v[17:18], off offset:42
	s_waitcnt vmcnt(1)
	v_lshlrev_b32_e32 v4, 16, v4
	s_waitcnt vmcnt(0)
	v_lshlrev_b32_e32 v5, 16, v5
	v_fmac_f32_e32 v12, v5, v4
.LBB12_98:                              ;   in Loop: Header=BB12_4 Depth=1
	s_or_b64 exec, exec, s[6:7]
	s_or_b64 exec, exec, s[38:39]
	s_and_saveexec_b64 s[38:39], s[2:3]
	s_cbranch_execz .LBB12_91
.LBB12_99:                              ;   in Loop: Header=BB12_4 Depth=1
	v_cmp_lt_i32_e64 s[4:5], -1, v13
	v_cmp_gt_i32_e64 s[6:7], s12, v13
	s_and_b64 s[4:5], s[4:5], s[6:7]
	s_and_b64 s[4:5], vcc, s[4:5]
	s_and_saveexec_b64 s[6:7], s[4:5]
	s_cbranch_execz .LBB12_101
; %bb.100:                              ;   in Loop: Header=BB12_4 Depth=1
	v_ashrrev_i32_e32 v4, 31, v3
	v_lshlrev_b64 v[17:18], 1, v[3:4]
	v_add_u32_e32 v5, v13, v16
	v_mov_b32_e32 v4, s29
	v_add_co_u32_e64 v17, s[4:5], s28, v17
	v_ashrrev_i32_e32 v6, 31, v5
	v_addc_co_u32_e64 v18, s[4:5], v4, v18, s[4:5]
	v_lshlrev_b64 v[4:5], 1, v[5:6]
	v_mov_b32_e32 v6, s27
	v_add_co_u32_e64 v4, s[4:5], s26, v4
	v_addc_co_u32_e64 v5, s[4:5], v6, v5, s[4:5]
	global_load_ushort v4, v[4:5], off
	s_nop 0
	global_load_ushort v5, v[17:18], off offset:44
	s_waitcnt vmcnt(1)
	v_lshlrev_b32_e32 v4, 16, v4
	s_waitcnt vmcnt(0)
	v_lshlrev_b32_e32 v5, 16, v5
	v_fmac_f32_e32 v12, v5, v4
.LBB12_101:                             ;   in Loop: Header=BB12_4 Depth=1
	s_or_b64 exec, exec, s[6:7]
	s_or_b64 exec, exec, s[38:39]
	s_and_saveexec_b64 s[38:39], s[2:3]
	s_cbranch_execz .LBB12_92
.LBB12_102:                             ;   in Loop: Header=BB12_4 Depth=1
	v_cmp_lt_i32_e64 s[4:5], -1, v14
	v_cmp_gt_i32_e64 s[6:7], s12, v14
	s_and_b64 s[4:5], s[4:5], s[6:7]
	s_and_b64 s[4:5], vcc, s[4:5]
	s_and_saveexec_b64 s[6:7], s[4:5]
	s_cbranch_execz .LBB12_104
; %bb.103:                              ;   in Loop: Header=BB12_4 Depth=1
	v_ashrrev_i32_e32 v4, 31, v3
	v_add_u32_e32 v5, v14, v16
	v_lshlrev_b64 v[13:14], 1, v[3:4]
	v_mov_b32_e32 v4, s29
	v_add_co_u32_e64 v13, s[4:5], s28, v13
	v_ashrrev_i32_e32 v6, 31, v5
	v_addc_co_u32_e64 v14, s[4:5], v4, v14, s[4:5]
	v_lshlrev_b64 v[4:5], 1, v[5:6]
	v_mov_b32_e32 v6, s27
	v_add_co_u32_e64 v4, s[4:5], s26, v4
	v_addc_co_u32_e64 v5, s[4:5], v6, v5, s[4:5]
	global_load_ushort v4, v[4:5], off
	s_nop 0
	global_load_ushort v5, v[13:14], off offset:46
	s_waitcnt vmcnt(1)
	v_lshlrev_b32_e32 v4, 16, v4
	s_waitcnt vmcnt(0)
	v_lshlrev_b32_e32 v5, 16, v5
	v_fmac_f32_e32 v12, v5, v4
.LBB12_104:                             ;   in Loop: Header=BB12_4 Depth=1
	s_or_b64 exec, exec, s[6:7]
	s_or_b64 exec, exec, s[38:39]
	s_and_saveexec_b64 s[6:7], s[2:3]
	s_cbranch_execz .LBB12_3
.LBB12_105:                             ;   in Loop: Header=BB12_4 Depth=1
	v_cmp_lt_i32_e64 s[2:3], -1, v15
	v_cmp_gt_i32_e64 s[4:5], s12, v15
	s_and_b64 s[2:3], s[2:3], s[4:5]
	s_and_b64 s[4:5], vcc, s[2:3]
	s_and_saveexec_b64 s[2:3], s[4:5]
	s_cbranch_execz .LBB12_2
; %bb.106:                              ;   in Loop: Header=BB12_4 Depth=1
	v_ashrrev_i32_e32 v4, 31, v3
	v_lshlrev_b64 v[3:4], 1, v[3:4]
	v_add_u32_e32 v5, v15, v16
	v_mov_b32_e32 v6, s29
	v_add_co_u32_e32 v3, vcc, s28, v3
	v_addc_co_u32_e32 v4, vcc, v6, v4, vcc
	v_ashrrev_i32_e32 v6, 31, v5
	v_lshlrev_b64 v[5:6], 1, v[5:6]
	v_mov_b32_e32 v13, s27
	v_add_co_u32_e32 v5, vcc, s26, v5
	v_addc_co_u32_e32 v6, vcc, v13, v6, vcc
	global_load_ushort v13, v[5:6], off
	global_load_ushort v14, v[3:4], off offset:48
	s_waitcnt vmcnt(1)
	v_lshlrev_b32_e32 v3, 16, v13
	s_waitcnt vmcnt(0)
	v_lshlrev_b32_e32 v4, 16, v14
	v_fmac_f32_e32 v12, v4, v3
	s_branch .LBB12_2
.LBB12_107:
	s_endpgm
	.section	.rodata,"a",@progbits
	.p2align	6, 0x0
	.amdhsa_kernel _ZN2at6native12_GLOBAL__N_131conv_depthwise2d_forward_kernelILi5EN3c108BFloat16EiEEvN5torch10headeronly6detail27GenericPackedTensorAccessorINS7_14TensorAccessorINS3_8ArrayRefIlEEKT0_Lm3ENS6_16DefaultPtrTraitsEiEENS_6detail16IndexBoundsCheckILm4EiEESD_Lm4ESE_iEENS8_INS9_ISB_SC_Lm3ESE_iEESI_SC_Lm4ESE_iEESJ_NS8_INS9_ISB_SD_Lm0ESE_iEENSH_ILm1EiEESD_Lm1ESE_iEEbT1_iiiiiiiiiiiiii
		.amdhsa_group_segment_fixed_size 0
		.amdhsa_private_segment_fixed_size 0
		.amdhsa_kernarg_size 456
		.amdhsa_user_sgpr_count 6
		.amdhsa_user_sgpr_private_segment_buffer 1
		.amdhsa_user_sgpr_dispatch_ptr 0
		.amdhsa_user_sgpr_queue_ptr 0
		.amdhsa_user_sgpr_kernarg_segment_ptr 1
		.amdhsa_user_sgpr_dispatch_id 0
		.amdhsa_user_sgpr_flat_scratch_init 0
		.amdhsa_user_sgpr_private_segment_size 0
		.amdhsa_uses_dynamic_stack 0
		.amdhsa_system_sgpr_private_segment_wavefront_offset 0
		.amdhsa_system_sgpr_workgroup_id_x 1
		.amdhsa_system_sgpr_workgroup_id_y 0
		.amdhsa_system_sgpr_workgroup_id_z 0
		.amdhsa_system_sgpr_workgroup_info 0
		.amdhsa_system_vgpr_workitem_id 0
		.amdhsa_next_free_vgpr 24
		.amdhsa_next_free_sgpr 51
		.amdhsa_reserve_vcc 1
		.amdhsa_reserve_flat_scratch 0
		.amdhsa_float_round_mode_32 0
		.amdhsa_float_round_mode_16_64 0
		.amdhsa_float_denorm_mode_32 3
		.amdhsa_float_denorm_mode_16_64 3
		.amdhsa_dx10_clamp 1
		.amdhsa_ieee_mode 1
		.amdhsa_fp16_overflow 0
		.amdhsa_exception_fp_ieee_invalid_op 0
		.amdhsa_exception_fp_denorm_src 0
		.amdhsa_exception_fp_ieee_div_zero 0
		.amdhsa_exception_fp_ieee_overflow 0
		.amdhsa_exception_fp_ieee_underflow 0
		.amdhsa_exception_fp_ieee_inexact 0
		.amdhsa_exception_int_div_zero 0
	.end_amdhsa_kernel
	.section	.text._ZN2at6native12_GLOBAL__N_131conv_depthwise2d_forward_kernelILi5EN3c108BFloat16EiEEvN5torch10headeronly6detail27GenericPackedTensorAccessorINS7_14TensorAccessorINS3_8ArrayRefIlEEKT0_Lm3ENS6_16DefaultPtrTraitsEiEENS_6detail16IndexBoundsCheckILm4EiEESD_Lm4ESE_iEENS8_INS9_ISB_SC_Lm3ESE_iEESI_SC_Lm4ESE_iEESJ_NS8_INS9_ISB_SD_Lm0ESE_iEENSH_ILm1EiEESD_Lm1ESE_iEEbT1_iiiiiiiiiiiiii,"axG",@progbits,_ZN2at6native12_GLOBAL__N_131conv_depthwise2d_forward_kernelILi5EN3c108BFloat16EiEEvN5torch10headeronly6detail27GenericPackedTensorAccessorINS7_14TensorAccessorINS3_8ArrayRefIlEEKT0_Lm3ENS6_16DefaultPtrTraitsEiEENS_6detail16IndexBoundsCheckILm4EiEESD_Lm4ESE_iEENS8_INS9_ISB_SC_Lm3ESE_iEESI_SC_Lm4ESE_iEESJ_NS8_INS9_ISB_SD_Lm0ESE_iEENSH_ILm1EiEESD_Lm1ESE_iEEbT1_iiiiiiiiiiiiii,comdat
.Lfunc_end12:
	.size	_ZN2at6native12_GLOBAL__N_131conv_depthwise2d_forward_kernelILi5EN3c108BFloat16EiEEvN5torch10headeronly6detail27GenericPackedTensorAccessorINS7_14TensorAccessorINS3_8ArrayRefIlEEKT0_Lm3ENS6_16DefaultPtrTraitsEiEENS_6detail16IndexBoundsCheckILm4EiEESD_Lm4ESE_iEENS8_INS9_ISB_SC_Lm3ESE_iEESI_SC_Lm4ESE_iEESJ_NS8_INS9_ISB_SD_Lm0ESE_iEENSH_ILm1EiEESD_Lm1ESE_iEEbT1_iiiiiiiiiiiiii, .Lfunc_end12-_ZN2at6native12_GLOBAL__N_131conv_depthwise2d_forward_kernelILi5EN3c108BFloat16EiEEvN5torch10headeronly6detail27GenericPackedTensorAccessorINS7_14TensorAccessorINS3_8ArrayRefIlEEKT0_Lm3ENS6_16DefaultPtrTraitsEiEENS_6detail16IndexBoundsCheckILm4EiEESD_Lm4ESE_iEENS8_INS9_ISB_SC_Lm3ESE_iEESI_SC_Lm4ESE_iEESJ_NS8_INS9_ISB_SD_Lm0ESE_iEENSH_ILm1EiEESD_Lm1ESE_iEEbT1_iiiiiiiiiiiiii
                                        ; -- End function
	.set _ZN2at6native12_GLOBAL__N_131conv_depthwise2d_forward_kernelILi5EN3c108BFloat16EiEEvN5torch10headeronly6detail27GenericPackedTensorAccessorINS7_14TensorAccessorINS3_8ArrayRefIlEEKT0_Lm3ENS6_16DefaultPtrTraitsEiEENS_6detail16IndexBoundsCheckILm4EiEESD_Lm4ESE_iEENS8_INS9_ISB_SC_Lm3ESE_iEESI_SC_Lm4ESE_iEESJ_NS8_INS9_ISB_SD_Lm0ESE_iEENSH_ILm1EiEESD_Lm1ESE_iEEbT1_iiiiiiiiiiiiii.num_vgpr, 24
	.set _ZN2at6native12_GLOBAL__N_131conv_depthwise2d_forward_kernelILi5EN3c108BFloat16EiEEvN5torch10headeronly6detail27GenericPackedTensorAccessorINS7_14TensorAccessorINS3_8ArrayRefIlEEKT0_Lm3ENS6_16DefaultPtrTraitsEiEENS_6detail16IndexBoundsCheckILm4EiEESD_Lm4ESE_iEENS8_INS9_ISB_SC_Lm3ESE_iEESI_SC_Lm4ESE_iEESJ_NS8_INS9_ISB_SD_Lm0ESE_iEENSH_ILm1EiEESD_Lm1ESE_iEEbT1_iiiiiiiiiiiiii.num_agpr, 0
	.set _ZN2at6native12_GLOBAL__N_131conv_depthwise2d_forward_kernelILi5EN3c108BFloat16EiEEvN5torch10headeronly6detail27GenericPackedTensorAccessorINS7_14TensorAccessorINS3_8ArrayRefIlEEKT0_Lm3ENS6_16DefaultPtrTraitsEiEENS_6detail16IndexBoundsCheckILm4EiEESD_Lm4ESE_iEENS8_INS9_ISB_SC_Lm3ESE_iEESI_SC_Lm4ESE_iEESJ_NS8_INS9_ISB_SD_Lm0ESE_iEENSH_ILm1EiEESD_Lm1ESE_iEEbT1_iiiiiiiiiiiiii.numbered_sgpr, 51
	.set _ZN2at6native12_GLOBAL__N_131conv_depthwise2d_forward_kernelILi5EN3c108BFloat16EiEEvN5torch10headeronly6detail27GenericPackedTensorAccessorINS7_14TensorAccessorINS3_8ArrayRefIlEEKT0_Lm3ENS6_16DefaultPtrTraitsEiEENS_6detail16IndexBoundsCheckILm4EiEESD_Lm4ESE_iEENS8_INS9_ISB_SC_Lm3ESE_iEESI_SC_Lm4ESE_iEESJ_NS8_INS9_ISB_SD_Lm0ESE_iEENSH_ILm1EiEESD_Lm1ESE_iEEbT1_iiiiiiiiiiiiii.num_named_barrier, 0
	.set _ZN2at6native12_GLOBAL__N_131conv_depthwise2d_forward_kernelILi5EN3c108BFloat16EiEEvN5torch10headeronly6detail27GenericPackedTensorAccessorINS7_14TensorAccessorINS3_8ArrayRefIlEEKT0_Lm3ENS6_16DefaultPtrTraitsEiEENS_6detail16IndexBoundsCheckILm4EiEESD_Lm4ESE_iEENS8_INS9_ISB_SC_Lm3ESE_iEESI_SC_Lm4ESE_iEESJ_NS8_INS9_ISB_SD_Lm0ESE_iEENSH_ILm1EiEESD_Lm1ESE_iEEbT1_iiiiiiiiiiiiii.private_seg_size, 0
	.set _ZN2at6native12_GLOBAL__N_131conv_depthwise2d_forward_kernelILi5EN3c108BFloat16EiEEvN5torch10headeronly6detail27GenericPackedTensorAccessorINS7_14TensorAccessorINS3_8ArrayRefIlEEKT0_Lm3ENS6_16DefaultPtrTraitsEiEENS_6detail16IndexBoundsCheckILm4EiEESD_Lm4ESE_iEENS8_INS9_ISB_SC_Lm3ESE_iEESI_SC_Lm4ESE_iEESJ_NS8_INS9_ISB_SD_Lm0ESE_iEENSH_ILm1EiEESD_Lm1ESE_iEEbT1_iiiiiiiiiiiiii.uses_vcc, 1
	.set _ZN2at6native12_GLOBAL__N_131conv_depthwise2d_forward_kernelILi5EN3c108BFloat16EiEEvN5torch10headeronly6detail27GenericPackedTensorAccessorINS7_14TensorAccessorINS3_8ArrayRefIlEEKT0_Lm3ENS6_16DefaultPtrTraitsEiEENS_6detail16IndexBoundsCheckILm4EiEESD_Lm4ESE_iEENS8_INS9_ISB_SC_Lm3ESE_iEESI_SC_Lm4ESE_iEESJ_NS8_INS9_ISB_SD_Lm0ESE_iEENSH_ILm1EiEESD_Lm1ESE_iEEbT1_iiiiiiiiiiiiii.uses_flat_scratch, 0
	.set _ZN2at6native12_GLOBAL__N_131conv_depthwise2d_forward_kernelILi5EN3c108BFloat16EiEEvN5torch10headeronly6detail27GenericPackedTensorAccessorINS7_14TensorAccessorINS3_8ArrayRefIlEEKT0_Lm3ENS6_16DefaultPtrTraitsEiEENS_6detail16IndexBoundsCheckILm4EiEESD_Lm4ESE_iEENS8_INS9_ISB_SC_Lm3ESE_iEESI_SC_Lm4ESE_iEESJ_NS8_INS9_ISB_SD_Lm0ESE_iEENSH_ILm1EiEESD_Lm1ESE_iEEbT1_iiiiiiiiiiiiii.has_dyn_sized_stack, 0
	.set _ZN2at6native12_GLOBAL__N_131conv_depthwise2d_forward_kernelILi5EN3c108BFloat16EiEEvN5torch10headeronly6detail27GenericPackedTensorAccessorINS7_14TensorAccessorINS3_8ArrayRefIlEEKT0_Lm3ENS6_16DefaultPtrTraitsEiEENS_6detail16IndexBoundsCheckILm4EiEESD_Lm4ESE_iEENS8_INS9_ISB_SC_Lm3ESE_iEESI_SC_Lm4ESE_iEESJ_NS8_INS9_ISB_SD_Lm0ESE_iEENSH_ILm1EiEESD_Lm1ESE_iEEbT1_iiiiiiiiiiiiii.has_recursion, 0
	.set _ZN2at6native12_GLOBAL__N_131conv_depthwise2d_forward_kernelILi5EN3c108BFloat16EiEEvN5torch10headeronly6detail27GenericPackedTensorAccessorINS7_14TensorAccessorINS3_8ArrayRefIlEEKT0_Lm3ENS6_16DefaultPtrTraitsEiEENS_6detail16IndexBoundsCheckILm4EiEESD_Lm4ESE_iEENS8_INS9_ISB_SC_Lm3ESE_iEESI_SC_Lm4ESE_iEESJ_NS8_INS9_ISB_SD_Lm0ESE_iEENSH_ILm1EiEESD_Lm1ESE_iEEbT1_iiiiiiiiiiiiii.has_indirect_call, 0
	.section	.AMDGPU.csdata,"",@progbits
; Kernel info:
; codeLenInByte = 5248
; TotalNumSgprs: 55
; NumVgprs: 24
; ScratchSize: 0
; MemoryBound: 0
; FloatMode: 240
; IeeeMode: 1
; LDSByteSize: 0 bytes/workgroup (compile time only)
; SGPRBlocks: 6
; VGPRBlocks: 5
; NumSGPRsForWavesPerEU: 55
; NumVGPRsForWavesPerEU: 24
; Occupancy: 10
; WaveLimiterHint : 0
; COMPUTE_PGM_RSRC2:SCRATCH_EN: 0
; COMPUTE_PGM_RSRC2:USER_SGPR: 6
; COMPUTE_PGM_RSRC2:TRAP_HANDLER: 0
; COMPUTE_PGM_RSRC2:TGID_X_EN: 1
; COMPUTE_PGM_RSRC2:TGID_Y_EN: 0
; COMPUTE_PGM_RSRC2:TGID_Z_EN: 0
; COMPUTE_PGM_RSRC2:TIDIG_COMP_CNT: 0
	.section	.text._ZN2at6native12_GLOBAL__N_131conv_depthwise2d_forward_kernelILi3EN3c108BFloat16EiEEvN5torch10headeronly6detail27GenericPackedTensorAccessorINS7_14TensorAccessorINS3_8ArrayRefIlEEKT0_Lm3ENS6_16DefaultPtrTraitsEiEENS_6detail16IndexBoundsCheckILm4EiEESD_Lm4ESE_iEENS8_INS9_ISB_SC_Lm3ESE_iEESI_SC_Lm4ESE_iEESJ_NS8_INS9_ISB_SD_Lm0ESE_iEENSH_ILm1EiEESD_Lm1ESE_iEEbT1_iiiiiiiiiiiiii,"axG",@progbits,_ZN2at6native12_GLOBAL__N_131conv_depthwise2d_forward_kernelILi3EN3c108BFloat16EiEEvN5torch10headeronly6detail27GenericPackedTensorAccessorINS7_14TensorAccessorINS3_8ArrayRefIlEEKT0_Lm3ENS6_16DefaultPtrTraitsEiEENS_6detail16IndexBoundsCheckILm4EiEESD_Lm4ESE_iEENS8_INS9_ISB_SC_Lm3ESE_iEESI_SC_Lm4ESE_iEESJ_NS8_INS9_ISB_SD_Lm0ESE_iEENSH_ILm1EiEESD_Lm1ESE_iEEbT1_iiiiiiiiiiiiii,comdat
	.globl	_ZN2at6native12_GLOBAL__N_131conv_depthwise2d_forward_kernelILi3EN3c108BFloat16EiEEvN5torch10headeronly6detail27GenericPackedTensorAccessorINS7_14TensorAccessorINS3_8ArrayRefIlEEKT0_Lm3ENS6_16DefaultPtrTraitsEiEENS_6detail16IndexBoundsCheckILm4EiEESD_Lm4ESE_iEENS8_INS9_ISB_SC_Lm3ESE_iEESI_SC_Lm4ESE_iEESJ_NS8_INS9_ISB_SD_Lm0ESE_iEENSH_ILm1EiEESD_Lm1ESE_iEEbT1_iiiiiiiiiiiiii ; -- Begin function _ZN2at6native12_GLOBAL__N_131conv_depthwise2d_forward_kernelILi3EN3c108BFloat16EiEEvN5torch10headeronly6detail27GenericPackedTensorAccessorINS7_14TensorAccessorINS3_8ArrayRefIlEEKT0_Lm3ENS6_16DefaultPtrTraitsEiEENS_6detail16IndexBoundsCheckILm4EiEESD_Lm4ESE_iEENS8_INS9_ISB_SC_Lm3ESE_iEESI_SC_Lm4ESE_iEESJ_NS8_INS9_ISB_SD_Lm0ESE_iEENSH_ILm1EiEESD_Lm1ESE_iEEbT1_iiiiiiiiiiiiii
	.p2align	8
	.type	_ZN2at6native12_GLOBAL__N_131conv_depthwise2d_forward_kernelILi3EN3c108BFloat16EiEEvN5torch10headeronly6detail27GenericPackedTensorAccessorINS7_14TensorAccessorINS3_8ArrayRefIlEEKT0_Lm3ENS6_16DefaultPtrTraitsEiEENS_6detail16IndexBoundsCheckILm4EiEESD_Lm4ESE_iEENS8_INS9_ISB_SC_Lm3ESE_iEESI_SC_Lm4ESE_iEESJ_NS8_INS9_ISB_SD_Lm0ESE_iEENSH_ILm1EiEESD_Lm1ESE_iEEbT1_iiiiiiiiiiiiii,@function
_ZN2at6native12_GLOBAL__N_131conv_depthwise2d_forward_kernelILi3EN3c108BFloat16EiEEvN5torch10headeronly6detail27GenericPackedTensorAccessorINS7_14TensorAccessorINS3_8ArrayRefIlEEKT0_Lm3ENS6_16DefaultPtrTraitsEiEENS_6detail16IndexBoundsCheckILm4EiEESD_Lm4ESE_iEENS8_INS9_ISB_SC_Lm3ESE_iEESI_SC_Lm4ESE_iEESJ_NS8_INS9_ISB_SD_Lm0ESE_iEENSH_ILm1EiEESD_Lm1ESE_iEEbT1_iiiiiiiiiiiiii: ; @_ZN2at6native12_GLOBAL__N_131conv_depthwise2d_forward_kernelILi3EN3c108BFloat16EiEEvN5torch10headeronly6detail27GenericPackedTensorAccessorINS7_14TensorAccessorINS3_8ArrayRefIlEEKT0_Lm3ENS6_16DefaultPtrTraitsEiEENS_6detail16IndexBoundsCheckILm4EiEESD_Lm4ESE_iEENS8_INS9_ISB_SC_Lm3ESE_iEESI_SC_Lm4ESE_iEESJ_NS8_INS9_ISB_SD_Lm0ESE_iEENSH_ILm1EiEESD_Lm1ESE_iEEbT1_iiiiiiiiiiiiii
; %bb.0:
	s_load_dword s0, s[4:5], 0xd4
	s_load_dwordx16 s[8:23], s[4:5], 0x88
	s_add_u32 s2, s4, 0xc8
	s_addc_u32 s3, s5, 0
	v_mov_b32_e32 v7, 0
	s_waitcnt lgkmcnt(0)
	s_and_b32 s7, s0, 0xffff
	s_mul_hi_u32 s33, s7, s6
	s_mul_i32 s40, s7, s6
	v_mov_b32_e32 v2, s33
	v_add_co_u32_e32 v1, vcc, s40, v0
	v_addc_co_u32_e32 v2, vcc, 0, v2, vcc
	s_ashr_i32 s25, s9, 31
	s_mov_b32 s24, s9
	v_cmp_gt_i64_e32 vcc, s[24:25], v[1:2]
	s_and_saveexec_b64 s[0:1], vcc
	s_cbranch_execz .LBB13_43
; %bb.1:
	s_bitcmp1_b32 s8, 0
	s_cselect_b64 s[8:9], -1, 0
	s_cmp_lg_u32 s11, 1
	s_cselect_b64 s[0:1], -1, 0
	s_abs_i32 s41, s14
	v_cvt_f32_u32_e32 v3, s41
	s_abs_i32 s43, s15
	v_cvt_f32_u32_e32 v4, s43
	s_load_dwordx2 s[26:27], s[4:5], 0x0
	s_load_dwordx2 s[34:35], s[4:5], 0x28
	;; [unrolled: 1-line block ×4, first 2 shown]
	s_load_dword s6, s[2:3], 0x0
	v_rcp_iflag_f32_e32 v3, v3
	s_sub_i32 s2, 0, s41
	v_rcp_iflag_f32_e32 v4, v4
	s_abs_i32 s44, s10
	v_mul_f32_e32 v3, 0x4f7ffffe, v3
	v_cvt_u32_f32_e32 v3, v3
	v_cvt_f32_u32_e32 v6, s44
	v_mul_f32_e32 v4, 0x4f7ffffe, v4
	v_cvt_u32_f32_e32 v4, v4
	v_mul_lo_u32 v5, s2, v3
	v_rcp_iflag_f32_e32 v6, v6
	s_sub_i32 s2, 0, s43
	s_abs_i32 s46, s11
	v_mul_hi_u32 v5, v3, v5
	v_mul_lo_u32 v9, s2, v4
	s_sub_i32 s2, 0, s44
	s_ashr_i32 s48, s10, 31
	v_add_u32_e32 v8, v3, v5
	v_mul_f32_e32 v5, 0x4f7ffffe, v6
	v_cvt_f32_u32_e32 v6, s46
	v_mul_hi_u32 v3, v4, v9
	v_cvt_u32_f32_e32 v5, v5
	s_ashr_i32 s11, s11, 31
	v_rcp_iflag_f32_e32 v6, v6
	v_add_u32_e32 v9, v4, v3
	v_mul_lo_u32 v10, s2, v5
	s_sub_i32 s2, 0, s46
	v_mul_f32_e32 v4, 0x4f7ffffe, v6
	v_cvt_u32_f32_e32 v4, v4
	s_mul_i32 s42, s17, s16
	s_waitcnt lgkmcnt(0)
	s_mul_i32 s16, s6, s7
	s_ashr_i32 s45, s14, 31
	v_readfirstlane_b32 s3, v4
	s_mul_i32 s2, s2, s3
	s_mul_hi_u32 s2, s3, s2
	s_add_i32 s49, s3, s2
	s_mul_hi_u32 s3, s44, s49
	s_mul_i32 s4, s3, s46
	s_sub_i32 s4, s44, s4
	s_ashr_i32 s47, s15, 31
	s_xor_b32 s2, s48, s11
	s_add_i32 s5, s3, 1
	s_sub_i32 s6, s4, s46
	v_mul_hi_u32 v3, v5, v10
	s_cmp_ge_u32 s4, s46
	s_cselect_b32 s3, s5, s3
	s_cselect_b32 s4, s6, s4
	s_add_i32 s5, s3, 1
	v_lshlrev_b64 v[1:2], 1, v[1:2]
	s_cmp_ge_u32 s4, s46
	v_add_u32_e32 v10, v5, v3
	s_cselect_b32 s3, s5, s3
	v_mov_b32_e32 v3, s35
	v_add_co_u32_e32 v1, vcc, s34, v1
	s_mov_b32 s17, 0
	s_xor_b32 s3, s3, s2
	v_addc_co_u32_e32 v2, vcc, v3, v2, vcc
	v_cndmask_b32_e64 v3, 0, 1, s[0:1]
	s_sub_i32 s50, s3, s2
	s_lshl_b64 s[34:35], s[16:17], 1
	s_sub_i32 s14, 0, s14
	s_mov_b64 s[36:37], 0
	s_movk_i32 s17, 0x7fff
	v_cmp_ne_u32_e64 s[0:1], 1, v3
	v_mov_b32_e32 v11, 0x7fc0
	s_branch .LBB13_4
.LBB13_2:                               ;   in Loop: Header=BB13_4 Depth=1
	s_or_b64 exec, exec, s[2:3]
.LBB13_3:                               ;   in Loop: Header=BB13_4 Depth=1
	s_or_b64 exec, exec, s[6:7]
	v_bfe_u32 v3, v12, 16, 1
	v_add3_u32 v3, v12, v3, s17
	v_cmp_o_f32_e32 vcc, v12, v12
	v_cndmask_b32_sdwa v3, v11, v3, vcc dst_sel:DWORD dst_unused:UNUSED_PAD src0_sel:DWORD src1_sel:WORD_1
	v_add_co_u32_e32 v0, vcc, s16, v0
	v_addc_co_u32_e32 v7, vcc, 0, v7, vcc
	global_store_short v[1:2], v3, off
	v_mov_b32_e32 v4, s33
	v_add_co_u32_e32 v3, vcc, s40, v0
	v_addc_co_u32_e32 v4, vcc, v4, v7, vcc
	v_cmp_le_i64_e32 vcc, s[24:25], v[3:4]
	v_mov_b32_e32 v3, s35
	s_or_b64 s[36:37], vcc, s[36:37]
	v_add_co_u32_e32 v1, vcc, s34, v1
	v_addc_co_u32_e32 v2, vcc, v2, v3, vcc
	s_andn2_b64 exec, exec, s[36:37]
	s_cbranch_execz .LBB13_43
.LBB13_4:                               ; =>This Inner Loop Header: Depth=1
	v_add_co_u32_e32 v3, vcc, s40, v0
	v_sub_u32_e32 v4, 0, v3
	v_max_i32_e32 v4, v3, v4
	v_mul_hi_u32 v5, v4, v8
	v_ashrrev_i32_e32 v12, 31, v3
	v_xor_b32_e32 v12, s45, v12
	s_mov_b32 s2, s10
	v_mul_lo_u32 v6, v5, s41
	v_add_u32_e32 v13, 1, v5
	v_sub_u32_e32 v4, v4, v6
	v_cmp_le_u32_e32 vcc, s41, v4
	v_subrev_u32_e32 v6, s41, v4
	v_cndmask_b32_e32 v5, v5, v13, vcc
	v_cndmask_b32_e32 v4, v4, v6, vcc
	v_add_u32_e32 v6, 1, v5
	v_cmp_le_u32_e32 vcc, s41, v4
	v_cndmask_b32_e32 v4, v5, v6, vcc
	v_xor_b32_e32 v4, v4, v12
	v_sub_u32_e32 v13, v4, v12
	v_sub_u32_e32 v4, 0, v13
	v_max_i32_e32 v4, v13, v4
	v_mul_hi_u32 v5, v4, v9
	v_ashrrev_i32_e32 v12, 31, v13
	v_xor_b32_e32 v12, s47, v12
	v_mul_lo_u32 v6, v5, s43
	v_add_u32_e32 v14, 1, v5
	v_sub_u32_e32 v4, v4, v6
	v_cmp_le_u32_e32 vcc, s43, v4
	v_subrev_u32_e32 v6, s43, v4
	v_cndmask_b32_e32 v5, v5, v14, vcc
	v_cndmask_b32_e32 v4, v4, v6, vcc
	v_add_u32_e32 v6, 1, v5
	v_cmp_le_u32_e32 vcc, s43, v4
	v_cndmask_b32_e32 v4, v5, v6, vcc
	v_xor_b32_e32 v4, v4, v12
	v_sub_u32_e32 v14, v4, v12
	v_sub_u32_e32 v4, 0, v14
	v_max_i32_e32 v4, v14, v4
	v_mul_hi_u32 v5, v4, v10
	v_ashrrev_i32_e32 v12, 31, v14
	v_xor_b32_e32 v12, s48, v12
	v_mul_lo_u32 v6, v5, s44
	v_add_u32_e32 v15, 1, v5
	v_sub_u32_e32 v4, v4, v6
	v_cmp_le_u32_e32 vcc, s44, v4
	v_subrev_u32_e32 v6, s44, v4
	v_cndmask_b32_e32 v5, v5, v15, vcc
	v_cndmask_b32_e32 v4, v4, v6, vcc
	v_add_u32_e32 v6, 1, v5
	v_cmp_le_u32_e32 vcc, s44, v4
	v_cndmask_b32_e32 v4, v5, v6, vcc
	v_xor_b32_e32 v4, v4, v12
	v_sub_u32_e32 v15, v4, v12
	v_mul_lo_u32 v4, v15, s10
	s_and_b64 vcc, exec, s[0:1]
	v_sub_u32_e32 v4, v14, v4
	v_ashrrev_i32_e32 v5, 31, v4
	v_mov_b32_e32 v6, v4
	s_cbranch_vccnz .LBB13_6
; %bb.5:                                ;   in Loop: Header=BB13_4 Depth=1
	v_sub_u32_e32 v6, 0, v4
	v_max_i32_e32 v6, v4, v6
	v_mul_hi_u32 v12, v6, s49
	v_xor_b32_e32 v17, s11, v5
	s_mov_b32 s2, s50
	v_mul_lo_u32 v16, v12, s46
	v_add_u32_e32 v18, 1, v12
	v_sub_u32_e32 v6, v6, v16
	v_cmp_le_u32_e32 vcc, s46, v6
	v_subrev_u32_e32 v16, s46, v6
	v_cndmask_b32_e32 v12, v12, v18, vcc
	v_cndmask_b32_e32 v6, v6, v16, vcc
	v_add_u32_e32 v16, 1, v12
	v_cmp_le_u32_e32 vcc, s46, v6
	v_cndmask_b32_e32 v6, v12, v16, vcc
	v_xor_b32_e32 v6, v6, v17
	v_sub_u32_e32 v6, v6, v17
.LBB13_6:                               ;   in Loop: Header=BB13_4 Depth=1
	s_andn2_b64 vcc, exec, s[8:9]
	v_mov_b32_e32 v12, 0
	s_cbranch_vccnz .LBB13_8
; %bb.7:                                ;   in Loop: Header=BB13_4 Depth=1
	v_lshlrev_b64 v[16:17], 1, v[4:5]
	v_mov_b32_e32 v5, s31
	v_add_co_u32_e32 v16, vcc, s30, v16
	v_addc_co_u32_e32 v17, vcc, v5, v17, vcc
	global_load_ushort v5, v[16:17], off
	s_waitcnt vmcnt(0)
	v_lshlrev_b32_e32 v12, 16, v5
.LBB13_8:                               ;   in Loop: Header=BB13_4 Depth=1
	v_mul_lo_u32 v14, v14, s15
	v_mad_u64_u32 v[5:6], s[2:3], s2, v15, v[6:7]
	v_mad_u64_u32 v[15:16], s[2:3], s14, v13, v[3:4]
	v_sub_u32_e32 v3, v13, v14
	v_mul_lo_u32 v6, v3, s19
	v_mul_lo_u32 v14, v5, s13
	;; [unrolled: 1-line block ×4, first 2 shown]
	v_subrev_u32_e32 v15, s21, v6
	v_add_u32_e32 v5, v15, v14
	v_mul_lo_u32 v16, v5, s12
	v_subrev_u32_e32 v5, s20, v4
	v_cmp_lt_i32_e64 s[2:3], -1, v15
	v_cmp_gt_i32_e32 vcc, s13, v15
	s_and_saveexec_b64 s[38:39], s[2:3]
	s_cbranch_execnz .LBB13_11
; %bb.9:                                ;   in Loop: Header=BB13_4 Depth=1
	s_or_b64 exec, exec, s[38:39]
	v_add_u32_e32 v6, s22, v5
	s_and_saveexec_b64 s[38:39], s[2:3]
	s_cbranch_execnz .LBB13_14
.LBB13_10:                              ;   in Loop: Header=BB13_4 Depth=1
	s_or_b64 exec, exec, s[38:39]
	v_add_u32_e32 v13, s22, v6
	s_and_saveexec_b64 s[6:7], s[2:3]
	s_cbranch_execnz .LBB13_17
	s_branch .LBB13_20
.LBB13_11:                              ;   in Loop: Header=BB13_4 Depth=1
	v_cmp_lt_i32_e64 s[4:5], -1, v5
	v_cmp_gt_i32_e64 s[6:7], s12, v5
	s_and_b64 s[4:5], s[4:5], s[6:7]
	s_and_b64 s[4:5], vcc, s[4:5]
	s_and_saveexec_b64 s[6:7], s[4:5]
	s_cbranch_execz .LBB13_13
; %bb.12:                               ;   in Loop: Header=BB13_4 Depth=1
	v_ashrrev_i32_e32 v4, 31, v3
	v_lshlrev_b64 v[18:19], 1, v[3:4]
	v_add_u32_e32 v17, v5, v16
	v_add_co_u32_e64 v20, s[4:5], s28, v18
	v_ashrrev_i32_e32 v18, 31, v17
	v_mov_b32_e32 v4, s29
	v_lshlrev_b64 v[17:18], 1, v[17:18]
	v_addc_co_u32_e64 v21, s[4:5], v4, v19, s[4:5]
	v_mov_b32_e32 v4, s27
	v_add_co_u32_e64 v17, s[4:5], s26, v17
	v_addc_co_u32_e64 v18, s[4:5], v4, v18, s[4:5]
	global_load_ushort v4, v[17:18], off
	global_load_ushort v6, v[20:21], off
	s_waitcnt vmcnt(1)
	v_lshlrev_b32_e32 v4, 16, v4
	s_waitcnt vmcnt(0)
	v_lshlrev_b32_e32 v6, 16, v6
	v_fmac_f32_e32 v12, v6, v4
.LBB13_13:                              ;   in Loop: Header=BB13_4 Depth=1
	s_or_b64 exec, exec, s[6:7]
	s_or_b64 exec, exec, s[38:39]
	v_add_u32_e32 v6, s22, v5
	s_and_saveexec_b64 s[38:39], s[2:3]
	s_cbranch_execz .LBB13_10
.LBB13_14:                              ;   in Loop: Header=BB13_4 Depth=1
	v_cmp_lt_i32_e64 s[4:5], -1, v6
	v_cmp_gt_i32_e64 s[6:7], s12, v6
	s_and_b64 s[4:5], s[4:5], s[6:7]
	s_and_b64 s[4:5], vcc, s[4:5]
	s_and_saveexec_b64 s[6:7], s[4:5]
	s_cbranch_execz .LBB13_16
; %bb.15:                               ;   in Loop: Header=BB13_4 Depth=1
	v_ashrrev_i32_e32 v4, 31, v3
	v_lshlrev_b64 v[18:19], 1, v[3:4]
	v_add_u32_e32 v17, v6, v16
	v_add_co_u32_e64 v20, s[4:5], s28, v18
	v_ashrrev_i32_e32 v18, 31, v17
	v_mov_b32_e32 v4, s29
	v_lshlrev_b64 v[17:18], 1, v[17:18]
	v_addc_co_u32_e64 v21, s[4:5], v4, v19, s[4:5]
	v_mov_b32_e32 v4, s27
	v_add_co_u32_e64 v17, s[4:5], s26, v17
	v_addc_co_u32_e64 v18, s[4:5], v4, v18, s[4:5]
	global_load_ushort v4, v[17:18], off
	global_load_ushort v13, v[20:21], off offset:2
	s_waitcnt vmcnt(1)
	v_lshlrev_b32_e32 v4, 16, v4
	s_waitcnt vmcnt(0)
	v_lshlrev_b32_e32 v13, 16, v13
	v_fmac_f32_e32 v12, v13, v4
.LBB13_16:                              ;   in Loop: Header=BB13_4 Depth=1
	s_or_b64 exec, exec, s[6:7]
	s_or_b64 exec, exec, s[38:39]
	v_add_u32_e32 v13, s22, v6
	s_and_saveexec_b64 s[6:7], s[2:3]
	s_cbranch_execz .LBB13_20
.LBB13_17:                              ;   in Loop: Header=BB13_4 Depth=1
	v_cmp_lt_i32_e64 s[2:3], -1, v13
	v_cmp_gt_i32_e64 s[4:5], s12, v13
	s_and_b64 s[2:3], s[2:3], s[4:5]
	s_and_b64 s[4:5], vcc, s[2:3]
	s_and_saveexec_b64 s[2:3], s[4:5]
	s_cbranch_execz .LBB13_19
; %bb.18:                               ;   in Loop: Header=BB13_4 Depth=1
	v_ashrrev_i32_e32 v4, 31, v3
	v_lshlrev_b64 v[17:18], 1, v[3:4]
	v_add_u32_e32 v16, v13, v16
	v_add_co_u32_e32 v19, vcc, s28, v17
	v_ashrrev_i32_e32 v17, 31, v16
	v_mov_b32_e32 v4, s29
	v_lshlrev_b64 v[16:17], 1, v[16:17]
	v_addc_co_u32_e32 v20, vcc, v4, v18, vcc
	v_mov_b32_e32 v4, s27
	v_add_co_u32_e32 v16, vcc, s26, v16
	v_addc_co_u32_e32 v17, vcc, v4, v17, vcc
	global_load_ushort v4, v[16:17], off
	global_load_ushort v18, v[19:20], off offset:4
	s_waitcnt vmcnt(1)
	v_lshlrev_b32_e32 v4, 16, v4
	s_waitcnt vmcnt(0)
	v_lshlrev_b32_e32 v16, 16, v18
	v_fmac_f32_e32 v12, v16, v4
.LBB13_19:                              ;   in Loop: Header=BB13_4 Depth=1
	s_or_b64 exec, exec, s[2:3]
.LBB13_20:                              ;   in Loop: Header=BB13_4 Depth=1
	s_or_b64 exec, exec, s[6:7]
	v_add_u32_e32 v15, s23, v15
	v_add_u32_e32 v4, v15, v14
	v_mul_lo_u32 v16, v4, s12
	v_cmp_lt_i32_e64 s[2:3], -1, v15
	v_cmp_gt_i32_e32 vcc, s13, v15
	s_and_saveexec_b64 s[38:39], s[2:3]
	s_cbranch_execnz .LBB13_23
; %bb.21:                               ;   in Loop: Header=BB13_4 Depth=1
	s_or_b64 exec, exec, s[38:39]
	s_and_saveexec_b64 s[38:39], s[2:3]
	s_cbranch_execnz .LBB13_26
.LBB13_22:                              ;   in Loop: Header=BB13_4 Depth=1
	s_or_b64 exec, exec, s[38:39]
	s_and_saveexec_b64 s[6:7], s[2:3]
	s_cbranch_execnz .LBB13_29
	s_branch .LBB13_32
.LBB13_23:                              ;   in Loop: Header=BB13_4 Depth=1
	v_cmp_lt_i32_e64 s[4:5], -1, v5
	v_cmp_gt_i32_e64 s[6:7], s12, v5
	s_and_b64 s[4:5], s[4:5], s[6:7]
	s_and_b64 s[4:5], vcc, s[4:5]
	s_and_saveexec_b64 s[6:7], s[4:5]
	s_cbranch_execz .LBB13_25
; %bb.24:                               ;   in Loop: Header=BB13_4 Depth=1
	v_ashrrev_i32_e32 v4, 31, v3
	v_lshlrev_b64 v[18:19], 1, v[3:4]
	v_add_u32_e32 v17, v5, v16
	v_add_co_u32_e64 v20, s[4:5], s28, v18
	v_ashrrev_i32_e32 v18, 31, v17
	v_mov_b32_e32 v4, s29
	v_lshlrev_b64 v[17:18], 1, v[17:18]
	v_addc_co_u32_e64 v21, s[4:5], v4, v19, s[4:5]
	v_mov_b32_e32 v4, s27
	v_add_co_u32_e64 v17, s[4:5], s26, v17
	v_addc_co_u32_e64 v18, s[4:5], v4, v18, s[4:5]
	global_load_ushort v4, v[17:18], off
	s_nop 0
	global_load_ushort v17, v[20:21], off offset:6
	s_waitcnt vmcnt(1)
	v_lshlrev_b32_e32 v4, 16, v4
	s_waitcnt vmcnt(0)
	v_lshlrev_b32_e32 v17, 16, v17
	v_fmac_f32_e32 v12, v17, v4
.LBB13_25:                              ;   in Loop: Header=BB13_4 Depth=1
	s_or_b64 exec, exec, s[6:7]
	s_or_b64 exec, exec, s[38:39]
	s_and_saveexec_b64 s[38:39], s[2:3]
	s_cbranch_execz .LBB13_22
.LBB13_26:                              ;   in Loop: Header=BB13_4 Depth=1
	v_cmp_lt_i32_e64 s[4:5], -1, v6
	v_cmp_gt_i32_e64 s[6:7], s12, v6
	s_and_b64 s[4:5], s[4:5], s[6:7]
	s_and_b64 s[4:5], vcc, s[4:5]
	s_and_saveexec_b64 s[6:7], s[4:5]
	s_cbranch_execz .LBB13_28
; %bb.27:                               ;   in Loop: Header=BB13_4 Depth=1
	v_ashrrev_i32_e32 v4, 31, v3
	v_lshlrev_b64 v[18:19], 1, v[3:4]
	v_add_u32_e32 v17, v6, v16
	v_add_co_u32_e64 v20, s[4:5], s28, v18
	v_ashrrev_i32_e32 v18, 31, v17
	v_mov_b32_e32 v4, s29
	v_lshlrev_b64 v[17:18], 1, v[17:18]
	v_addc_co_u32_e64 v21, s[4:5], v4, v19, s[4:5]
	v_mov_b32_e32 v4, s27
	v_add_co_u32_e64 v17, s[4:5], s26, v17
	v_addc_co_u32_e64 v18, s[4:5], v4, v18, s[4:5]
	global_load_ushort v4, v[17:18], off
	s_nop 0
	global_load_ushort v17, v[20:21], off offset:8
	s_waitcnt vmcnt(1)
	v_lshlrev_b32_e32 v4, 16, v4
	s_waitcnt vmcnt(0)
	v_lshlrev_b32_e32 v17, 16, v17
	v_fmac_f32_e32 v12, v17, v4
.LBB13_28:                              ;   in Loop: Header=BB13_4 Depth=1
	s_or_b64 exec, exec, s[6:7]
	s_or_b64 exec, exec, s[38:39]
	s_and_saveexec_b64 s[6:7], s[2:3]
	s_cbranch_execz .LBB13_32
.LBB13_29:                              ;   in Loop: Header=BB13_4 Depth=1
	v_cmp_lt_i32_e64 s[2:3], -1, v13
	v_cmp_gt_i32_e64 s[4:5], s12, v13
	s_and_b64 s[2:3], s[2:3], s[4:5]
	s_and_b64 s[4:5], vcc, s[2:3]
	s_and_saveexec_b64 s[2:3], s[4:5]
	s_cbranch_execz .LBB13_31
; %bb.30:                               ;   in Loop: Header=BB13_4 Depth=1
	v_ashrrev_i32_e32 v4, 31, v3
	v_lshlrev_b64 v[17:18], 1, v[3:4]
	v_add_u32_e32 v16, v13, v16
	v_add_co_u32_e32 v19, vcc, s28, v17
	v_ashrrev_i32_e32 v17, 31, v16
	v_mov_b32_e32 v4, s29
	v_lshlrev_b64 v[16:17], 1, v[16:17]
	v_addc_co_u32_e32 v20, vcc, v4, v18, vcc
	v_mov_b32_e32 v4, s27
	v_add_co_u32_e32 v16, vcc, s26, v16
	v_addc_co_u32_e32 v17, vcc, v4, v17, vcc
	global_load_ushort v4, v[16:17], off
	global_load_ushort v18, v[19:20], off offset:10
	s_waitcnt vmcnt(1)
	v_lshlrev_b32_e32 v4, 16, v4
	s_waitcnt vmcnt(0)
	v_lshlrev_b32_e32 v16, 16, v18
	v_fmac_f32_e32 v12, v16, v4
.LBB13_31:                              ;   in Loop: Header=BB13_4 Depth=1
	s_or_b64 exec, exec, s[2:3]
.LBB13_32:                              ;   in Loop: Header=BB13_4 Depth=1
	s_or_b64 exec, exec, s[6:7]
	v_add_u32_e32 v4, s23, v15
	v_add_u32_e32 v14, v4, v14
	v_mul_lo_u32 v14, v14, s12
	v_cmp_lt_i32_e64 s[2:3], -1, v4
	v_cmp_gt_i32_e32 vcc, s13, v4
	s_and_saveexec_b64 s[38:39], s[2:3]
	s_cbranch_execnz .LBB13_35
; %bb.33:                               ;   in Loop: Header=BB13_4 Depth=1
	s_or_b64 exec, exec, s[38:39]
	s_and_saveexec_b64 s[38:39], s[2:3]
	s_cbranch_execnz .LBB13_38
.LBB13_34:                              ;   in Loop: Header=BB13_4 Depth=1
	s_or_b64 exec, exec, s[38:39]
	s_and_saveexec_b64 s[6:7], s[2:3]
	s_cbranch_execz .LBB13_3
	s_branch .LBB13_41
.LBB13_35:                              ;   in Loop: Header=BB13_4 Depth=1
	v_cmp_lt_i32_e64 s[4:5], -1, v5
	v_cmp_gt_i32_e64 s[6:7], s12, v5
	s_and_b64 s[4:5], s[4:5], s[6:7]
	s_and_b64 s[4:5], vcc, s[4:5]
	s_and_saveexec_b64 s[6:7], s[4:5]
	s_cbranch_execz .LBB13_37
; %bb.36:                               ;   in Loop: Header=BB13_4 Depth=1
	v_ashrrev_i32_e32 v4, 31, v3
	v_add_u32_e32 v15, v5, v14
	v_lshlrev_b64 v[4:5], 1, v[3:4]
	v_mov_b32_e32 v16, s29
	v_add_co_u32_e64 v4, s[4:5], s28, v4
	v_addc_co_u32_e64 v5, s[4:5], v16, v5, s[4:5]
	v_ashrrev_i32_e32 v16, 31, v15
	v_lshlrev_b64 v[15:16], 1, v[15:16]
	v_mov_b32_e32 v17, s27
	v_add_co_u32_e64 v15, s[4:5], s26, v15
	v_addc_co_u32_e64 v16, s[4:5], v17, v16, s[4:5]
	global_load_ushort v15, v[15:16], off
	s_nop 0
	global_load_ushort v4, v[4:5], off offset:12
	s_waitcnt vmcnt(1)
	v_lshlrev_b32_e32 v5, 16, v15
	s_waitcnt vmcnt(0)
	v_lshlrev_b32_e32 v4, 16, v4
	v_fmac_f32_e32 v12, v4, v5
.LBB13_37:                              ;   in Loop: Header=BB13_4 Depth=1
	s_or_b64 exec, exec, s[6:7]
	s_or_b64 exec, exec, s[38:39]
	s_and_saveexec_b64 s[38:39], s[2:3]
	s_cbranch_execz .LBB13_34
.LBB13_38:                              ;   in Loop: Header=BB13_4 Depth=1
	v_cmp_lt_i32_e64 s[4:5], -1, v6
	v_cmp_gt_i32_e64 s[6:7], s12, v6
	s_and_b64 s[4:5], s[4:5], s[6:7]
	s_and_b64 s[4:5], vcc, s[4:5]
	s_and_saveexec_b64 s[6:7], s[4:5]
	s_cbranch_execz .LBB13_40
; %bb.39:                               ;   in Loop: Header=BB13_4 Depth=1
	v_ashrrev_i32_e32 v4, 31, v3
	v_lshlrev_b64 v[15:16], 1, v[3:4]
	v_add_u32_e32 v5, v6, v14
	v_mov_b32_e32 v4, s29
	v_add_co_u32_e64 v15, s[4:5], s28, v15
	v_ashrrev_i32_e32 v6, 31, v5
	v_addc_co_u32_e64 v16, s[4:5], v4, v16, s[4:5]
	v_lshlrev_b64 v[4:5], 1, v[5:6]
	v_mov_b32_e32 v6, s27
	v_add_co_u32_e64 v4, s[4:5], s26, v4
	v_addc_co_u32_e64 v5, s[4:5], v6, v5, s[4:5]
	global_load_ushort v4, v[4:5], off
	s_nop 0
	global_load_ushort v5, v[15:16], off offset:14
	s_waitcnt vmcnt(1)
	v_lshlrev_b32_e32 v4, 16, v4
	s_waitcnt vmcnt(0)
	v_lshlrev_b32_e32 v5, 16, v5
	v_fmac_f32_e32 v12, v5, v4
.LBB13_40:                              ;   in Loop: Header=BB13_4 Depth=1
	s_or_b64 exec, exec, s[6:7]
	s_or_b64 exec, exec, s[38:39]
	s_and_saveexec_b64 s[6:7], s[2:3]
	s_cbranch_execz .LBB13_3
.LBB13_41:                              ;   in Loop: Header=BB13_4 Depth=1
	v_cmp_lt_i32_e64 s[2:3], -1, v13
	v_cmp_gt_i32_e64 s[4:5], s12, v13
	s_and_b64 s[2:3], s[2:3], s[4:5]
	s_and_b64 s[4:5], vcc, s[2:3]
	s_and_saveexec_b64 s[2:3], s[4:5]
	s_cbranch_execz .LBB13_2
; %bb.42:                               ;   in Loop: Header=BB13_4 Depth=1
	v_ashrrev_i32_e32 v4, 31, v3
	v_lshlrev_b64 v[3:4], 1, v[3:4]
	v_add_u32_e32 v5, v13, v14
	v_mov_b32_e32 v6, s29
	v_add_co_u32_e32 v3, vcc, s28, v3
	v_addc_co_u32_e32 v4, vcc, v6, v4, vcc
	v_ashrrev_i32_e32 v6, 31, v5
	v_lshlrev_b64 v[5:6], 1, v[5:6]
	v_mov_b32_e32 v13, s27
	v_add_co_u32_e32 v5, vcc, s26, v5
	v_addc_co_u32_e32 v6, vcc, v13, v6, vcc
	global_load_ushort v13, v[5:6], off
	global_load_ushort v14, v[3:4], off offset:16
	s_waitcnt vmcnt(1)
	v_lshlrev_b32_e32 v3, 16, v13
	s_waitcnt vmcnt(0)
	v_lshlrev_b32_e32 v4, 16, v14
	v_fmac_f32_e32 v12, v4, v3
	s_branch .LBB13_2
.LBB13_43:
	s_endpgm
	.section	.rodata,"a",@progbits
	.p2align	6, 0x0
	.amdhsa_kernel _ZN2at6native12_GLOBAL__N_131conv_depthwise2d_forward_kernelILi3EN3c108BFloat16EiEEvN5torch10headeronly6detail27GenericPackedTensorAccessorINS7_14TensorAccessorINS3_8ArrayRefIlEEKT0_Lm3ENS6_16DefaultPtrTraitsEiEENS_6detail16IndexBoundsCheckILm4EiEESD_Lm4ESE_iEENS8_INS9_ISB_SC_Lm3ESE_iEESI_SC_Lm4ESE_iEESJ_NS8_INS9_ISB_SD_Lm0ESE_iEENSH_ILm1EiEESD_Lm1ESE_iEEbT1_iiiiiiiiiiiiii
		.amdhsa_group_segment_fixed_size 0
		.amdhsa_private_segment_fixed_size 0
		.amdhsa_kernarg_size 456
		.amdhsa_user_sgpr_count 6
		.amdhsa_user_sgpr_private_segment_buffer 1
		.amdhsa_user_sgpr_dispatch_ptr 0
		.amdhsa_user_sgpr_queue_ptr 0
		.amdhsa_user_sgpr_kernarg_segment_ptr 1
		.amdhsa_user_sgpr_dispatch_id 0
		.amdhsa_user_sgpr_flat_scratch_init 0
		.amdhsa_user_sgpr_private_segment_size 0
		.amdhsa_uses_dynamic_stack 0
		.amdhsa_system_sgpr_private_segment_wavefront_offset 0
		.amdhsa_system_sgpr_workgroup_id_x 1
		.amdhsa_system_sgpr_workgroup_id_y 0
		.amdhsa_system_sgpr_workgroup_id_z 0
		.amdhsa_system_sgpr_workgroup_info 0
		.amdhsa_system_vgpr_workitem_id 0
		.amdhsa_next_free_vgpr 22
		.amdhsa_next_free_sgpr 51
		.amdhsa_reserve_vcc 1
		.amdhsa_reserve_flat_scratch 0
		.amdhsa_float_round_mode_32 0
		.amdhsa_float_round_mode_16_64 0
		.amdhsa_float_denorm_mode_32 3
		.amdhsa_float_denorm_mode_16_64 3
		.amdhsa_dx10_clamp 1
		.amdhsa_ieee_mode 1
		.amdhsa_fp16_overflow 0
		.amdhsa_exception_fp_ieee_invalid_op 0
		.amdhsa_exception_fp_denorm_src 0
		.amdhsa_exception_fp_ieee_div_zero 0
		.amdhsa_exception_fp_ieee_overflow 0
		.amdhsa_exception_fp_ieee_underflow 0
		.amdhsa_exception_fp_ieee_inexact 0
		.amdhsa_exception_int_div_zero 0
	.end_amdhsa_kernel
	.section	.text._ZN2at6native12_GLOBAL__N_131conv_depthwise2d_forward_kernelILi3EN3c108BFloat16EiEEvN5torch10headeronly6detail27GenericPackedTensorAccessorINS7_14TensorAccessorINS3_8ArrayRefIlEEKT0_Lm3ENS6_16DefaultPtrTraitsEiEENS_6detail16IndexBoundsCheckILm4EiEESD_Lm4ESE_iEENS8_INS9_ISB_SC_Lm3ESE_iEESI_SC_Lm4ESE_iEESJ_NS8_INS9_ISB_SD_Lm0ESE_iEENSH_ILm1EiEESD_Lm1ESE_iEEbT1_iiiiiiiiiiiiii,"axG",@progbits,_ZN2at6native12_GLOBAL__N_131conv_depthwise2d_forward_kernelILi3EN3c108BFloat16EiEEvN5torch10headeronly6detail27GenericPackedTensorAccessorINS7_14TensorAccessorINS3_8ArrayRefIlEEKT0_Lm3ENS6_16DefaultPtrTraitsEiEENS_6detail16IndexBoundsCheckILm4EiEESD_Lm4ESE_iEENS8_INS9_ISB_SC_Lm3ESE_iEESI_SC_Lm4ESE_iEESJ_NS8_INS9_ISB_SD_Lm0ESE_iEENSH_ILm1EiEESD_Lm1ESE_iEEbT1_iiiiiiiiiiiiii,comdat
.Lfunc_end13:
	.size	_ZN2at6native12_GLOBAL__N_131conv_depthwise2d_forward_kernelILi3EN3c108BFloat16EiEEvN5torch10headeronly6detail27GenericPackedTensorAccessorINS7_14TensorAccessorINS3_8ArrayRefIlEEKT0_Lm3ENS6_16DefaultPtrTraitsEiEENS_6detail16IndexBoundsCheckILm4EiEESD_Lm4ESE_iEENS8_INS9_ISB_SC_Lm3ESE_iEESI_SC_Lm4ESE_iEESJ_NS8_INS9_ISB_SD_Lm0ESE_iEENSH_ILm1EiEESD_Lm1ESE_iEEbT1_iiiiiiiiiiiiii, .Lfunc_end13-_ZN2at6native12_GLOBAL__N_131conv_depthwise2d_forward_kernelILi3EN3c108BFloat16EiEEvN5torch10headeronly6detail27GenericPackedTensorAccessorINS7_14TensorAccessorINS3_8ArrayRefIlEEKT0_Lm3ENS6_16DefaultPtrTraitsEiEENS_6detail16IndexBoundsCheckILm4EiEESD_Lm4ESE_iEENS8_INS9_ISB_SC_Lm3ESE_iEESI_SC_Lm4ESE_iEESJ_NS8_INS9_ISB_SD_Lm0ESE_iEENSH_ILm1EiEESD_Lm1ESE_iEEbT1_iiiiiiiiiiiiii
                                        ; -- End function
	.set _ZN2at6native12_GLOBAL__N_131conv_depthwise2d_forward_kernelILi3EN3c108BFloat16EiEEvN5torch10headeronly6detail27GenericPackedTensorAccessorINS7_14TensorAccessorINS3_8ArrayRefIlEEKT0_Lm3ENS6_16DefaultPtrTraitsEiEENS_6detail16IndexBoundsCheckILm4EiEESD_Lm4ESE_iEENS8_INS9_ISB_SC_Lm3ESE_iEESI_SC_Lm4ESE_iEESJ_NS8_INS9_ISB_SD_Lm0ESE_iEENSH_ILm1EiEESD_Lm1ESE_iEEbT1_iiiiiiiiiiiiii.num_vgpr, 22
	.set _ZN2at6native12_GLOBAL__N_131conv_depthwise2d_forward_kernelILi3EN3c108BFloat16EiEEvN5torch10headeronly6detail27GenericPackedTensorAccessorINS7_14TensorAccessorINS3_8ArrayRefIlEEKT0_Lm3ENS6_16DefaultPtrTraitsEiEENS_6detail16IndexBoundsCheckILm4EiEESD_Lm4ESE_iEENS8_INS9_ISB_SC_Lm3ESE_iEESI_SC_Lm4ESE_iEESJ_NS8_INS9_ISB_SD_Lm0ESE_iEENSH_ILm1EiEESD_Lm1ESE_iEEbT1_iiiiiiiiiiiiii.num_agpr, 0
	.set _ZN2at6native12_GLOBAL__N_131conv_depthwise2d_forward_kernelILi3EN3c108BFloat16EiEEvN5torch10headeronly6detail27GenericPackedTensorAccessorINS7_14TensorAccessorINS3_8ArrayRefIlEEKT0_Lm3ENS6_16DefaultPtrTraitsEiEENS_6detail16IndexBoundsCheckILm4EiEESD_Lm4ESE_iEENS8_INS9_ISB_SC_Lm3ESE_iEESI_SC_Lm4ESE_iEESJ_NS8_INS9_ISB_SD_Lm0ESE_iEENSH_ILm1EiEESD_Lm1ESE_iEEbT1_iiiiiiiiiiiiii.numbered_sgpr, 51
	.set _ZN2at6native12_GLOBAL__N_131conv_depthwise2d_forward_kernelILi3EN3c108BFloat16EiEEvN5torch10headeronly6detail27GenericPackedTensorAccessorINS7_14TensorAccessorINS3_8ArrayRefIlEEKT0_Lm3ENS6_16DefaultPtrTraitsEiEENS_6detail16IndexBoundsCheckILm4EiEESD_Lm4ESE_iEENS8_INS9_ISB_SC_Lm3ESE_iEESI_SC_Lm4ESE_iEESJ_NS8_INS9_ISB_SD_Lm0ESE_iEENSH_ILm1EiEESD_Lm1ESE_iEEbT1_iiiiiiiiiiiiii.num_named_barrier, 0
	.set _ZN2at6native12_GLOBAL__N_131conv_depthwise2d_forward_kernelILi3EN3c108BFloat16EiEEvN5torch10headeronly6detail27GenericPackedTensorAccessorINS7_14TensorAccessorINS3_8ArrayRefIlEEKT0_Lm3ENS6_16DefaultPtrTraitsEiEENS_6detail16IndexBoundsCheckILm4EiEESD_Lm4ESE_iEENS8_INS9_ISB_SC_Lm3ESE_iEESI_SC_Lm4ESE_iEESJ_NS8_INS9_ISB_SD_Lm0ESE_iEENSH_ILm1EiEESD_Lm1ESE_iEEbT1_iiiiiiiiiiiiii.private_seg_size, 0
	.set _ZN2at6native12_GLOBAL__N_131conv_depthwise2d_forward_kernelILi3EN3c108BFloat16EiEEvN5torch10headeronly6detail27GenericPackedTensorAccessorINS7_14TensorAccessorINS3_8ArrayRefIlEEKT0_Lm3ENS6_16DefaultPtrTraitsEiEENS_6detail16IndexBoundsCheckILm4EiEESD_Lm4ESE_iEENS8_INS9_ISB_SC_Lm3ESE_iEESI_SC_Lm4ESE_iEESJ_NS8_INS9_ISB_SD_Lm0ESE_iEENSH_ILm1EiEESD_Lm1ESE_iEEbT1_iiiiiiiiiiiiii.uses_vcc, 1
	.set _ZN2at6native12_GLOBAL__N_131conv_depthwise2d_forward_kernelILi3EN3c108BFloat16EiEEvN5torch10headeronly6detail27GenericPackedTensorAccessorINS7_14TensorAccessorINS3_8ArrayRefIlEEKT0_Lm3ENS6_16DefaultPtrTraitsEiEENS_6detail16IndexBoundsCheckILm4EiEESD_Lm4ESE_iEENS8_INS9_ISB_SC_Lm3ESE_iEESI_SC_Lm4ESE_iEESJ_NS8_INS9_ISB_SD_Lm0ESE_iEENSH_ILm1EiEESD_Lm1ESE_iEEbT1_iiiiiiiiiiiiii.uses_flat_scratch, 0
	.set _ZN2at6native12_GLOBAL__N_131conv_depthwise2d_forward_kernelILi3EN3c108BFloat16EiEEvN5torch10headeronly6detail27GenericPackedTensorAccessorINS7_14TensorAccessorINS3_8ArrayRefIlEEKT0_Lm3ENS6_16DefaultPtrTraitsEiEENS_6detail16IndexBoundsCheckILm4EiEESD_Lm4ESE_iEENS8_INS9_ISB_SC_Lm3ESE_iEESI_SC_Lm4ESE_iEESJ_NS8_INS9_ISB_SD_Lm0ESE_iEENSH_ILm1EiEESD_Lm1ESE_iEEbT1_iiiiiiiiiiiiii.has_dyn_sized_stack, 0
	.set _ZN2at6native12_GLOBAL__N_131conv_depthwise2d_forward_kernelILi3EN3c108BFloat16EiEEvN5torch10headeronly6detail27GenericPackedTensorAccessorINS7_14TensorAccessorINS3_8ArrayRefIlEEKT0_Lm3ENS6_16DefaultPtrTraitsEiEENS_6detail16IndexBoundsCheckILm4EiEESD_Lm4ESE_iEENS8_INS9_ISB_SC_Lm3ESE_iEESI_SC_Lm4ESE_iEESJ_NS8_INS9_ISB_SD_Lm0ESE_iEENSH_ILm1EiEESD_Lm1ESE_iEEbT1_iiiiiiiiiiiiii.has_recursion, 0
	.set _ZN2at6native12_GLOBAL__N_131conv_depthwise2d_forward_kernelILi3EN3c108BFloat16EiEEvN5torch10headeronly6detail27GenericPackedTensorAccessorINS7_14TensorAccessorINS3_8ArrayRefIlEEKT0_Lm3ENS6_16DefaultPtrTraitsEiEENS_6detail16IndexBoundsCheckILm4EiEESD_Lm4ESE_iEENS8_INS9_ISB_SC_Lm3ESE_iEESI_SC_Lm4ESE_iEESJ_NS8_INS9_ISB_SD_Lm0ESE_iEENSH_ILm1EiEESD_Lm1ESE_iEEbT1_iiiiiiiiiiiiii.has_indirect_call, 0
	.section	.AMDGPU.csdata,"",@progbits
; Kernel info:
; codeLenInByte = 2544
; TotalNumSgprs: 55
; NumVgprs: 22
; ScratchSize: 0
; MemoryBound: 0
; FloatMode: 240
; IeeeMode: 1
; LDSByteSize: 0 bytes/workgroup (compile time only)
; SGPRBlocks: 6
; VGPRBlocks: 5
; NumSGPRsForWavesPerEU: 55
; NumVGPRsForWavesPerEU: 22
; Occupancy: 10
; WaveLimiterHint : 0
; COMPUTE_PGM_RSRC2:SCRATCH_EN: 0
; COMPUTE_PGM_RSRC2:USER_SGPR: 6
; COMPUTE_PGM_RSRC2:TRAP_HANDLER: 0
; COMPUTE_PGM_RSRC2:TGID_X_EN: 1
; COMPUTE_PGM_RSRC2:TGID_Y_EN: 0
; COMPUTE_PGM_RSRC2:TGID_Z_EN: 0
; COMPUTE_PGM_RSRC2:TIDIG_COMP_CNT: 0
	.section	.text._ZN2at6native12_GLOBAL__N_131conv_depthwise2d_forward_kernelILi1EN3c108BFloat16EiEEvN5torch10headeronly6detail27GenericPackedTensorAccessorINS7_14TensorAccessorINS3_8ArrayRefIlEEKT0_Lm3ENS6_16DefaultPtrTraitsEiEENS_6detail16IndexBoundsCheckILm4EiEESD_Lm4ESE_iEENS8_INS9_ISB_SC_Lm3ESE_iEESI_SC_Lm4ESE_iEESJ_NS8_INS9_ISB_SD_Lm0ESE_iEENSH_ILm1EiEESD_Lm1ESE_iEEbT1_iiiiiiiiiiiiii,"axG",@progbits,_ZN2at6native12_GLOBAL__N_131conv_depthwise2d_forward_kernelILi1EN3c108BFloat16EiEEvN5torch10headeronly6detail27GenericPackedTensorAccessorINS7_14TensorAccessorINS3_8ArrayRefIlEEKT0_Lm3ENS6_16DefaultPtrTraitsEiEENS_6detail16IndexBoundsCheckILm4EiEESD_Lm4ESE_iEENS8_INS9_ISB_SC_Lm3ESE_iEESI_SC_Lm4ESE_iEESJ_NS8_INS9_ISB_SD_Lm0ESE_iEENSH_ILm1EiEESD_Lm1ESE_iEEbT1_iiiiiiiiiiiiii,comdat
	.globl	_ZN2at6native12_GLOBAL__N_131conv_depthwise2d_forward_kernelILi1EN3c108BFloat16EiEEvN5torch10headeronly6detail27GenericPackedTensorAccessorINS7_14TensorAccessorINS3_8ArrayRefIlEEKT0_Lm3ENS6_16DefaultPtrTraitsEiEENS_6detail16IndexBoundsCheckILm4EiEESD_Lm4ESE_iEENS8_INS9_ISB_SC_Lm3ESE_iEESI_SC_Lm4ESE_iEESJ_NS8_INS9_ISB_SD_Lm0ESE_iEENSH_ILm1EiEESD_Lm1ESE_iEEbT1_iiiiiiiiiiiiii ; -- Begin function _ZN2at6native12_GLOBAL__N_131conv_depthwise2d_forward_kernelILi1EN3c108BFloat16EiEEvN5torch10headeronly6detail27GenericPackedTensorAccessorINS7_14TensorAccessorINS3_8ArrayRefIlEEKT0_Lm3ENS6_16DefaultPtrTraitsEiEENS_6detail16IndexBoundsCheckILm4EiEESD_Lm4ESE_iEENS8_INS9_ISB_SC_Lm3ESE_iEESI_SC_Lm4ESE_iEESJ_NS8_INS9_ISB_SD_Lm0ESE_iEENSH_ILm1EiEESD_Lm1ESE_iEEbT1_iiiiiiiiiiiiii
	.p2align	8
	.type	_ZN2at6native12_GLOBAL__N_131conv_depthwise2d_forward_kernelILi1EN3c108BFloat16EiEEvN5torch10headeronly6detail27GenericPackedTensorAccessorINS7_14TensorAccessorINS3_8ArrayRefIlEEKT0_Lm3ENS6_16DefaultPtrTraitsEiEENS_6detail16IndexBoundsCheckILm4EiEESD_Lm4ESE_iEENS8_INS9_ISB_SC_Lm3ESE_iEESI_SC_Lm4ESE_iEESJ_NS8_INS9_ISB_SD_Lm0ESE_iEENSH_ILm1EiEESD_Lm1ESE_iEEbT1_iiiiiiiiiiiiii,@function
_ZN2at6native12_GLOBAL__N_131conv_depthwise2d_forward_kernelILi1EN3c108BFloat16EiEEvN5torch10headeronly6detail27GenericPackedTensorAccessorINS7_14TensorAccessorINS3_8ArrayRefIlEEKT0_Lm3ENS6_16DefaultPtrTraitsEiEENS_6detail16IndexBoundsCheckILm4EiEESD_Lm4ESE_iEENS8_INS9_ISB_SC_Lm3ESE_iEESI_SC_Lm4ESE_iEESJ_NS8_INS9_ISB_SD_Lm0ESE_iEENSH_ILm1EiEESD_Lm1ESE_iEEbT1_iiiiiiiiiiiiii: ; @_ZN2at6native12_GLOBAL__N_131conv_depthwise2d_forward_kernelILi1EN3c108BFloat16EiEEvN5torch10headeronly6detail27GenericPackedTensorAccessorINS7_14TensorAccessorINS3_8ArrayRefIlEEKT0_Lm3ENS6_16DefaultPtrTraitsEiEENS_6detail16IndexBoundsCheckILm4EiEESD_Lm4ESE_iEENS8_INS9_ISB_SC_Lm3ESE_iEESI_SC_Lm4ESE_iEESJ_NS8_INS9_ISB_SD_Lm0ESE_iEENSH_ILm1EiEESD_Lm1ESE_iEEbT1_iiiiiiiiiiiiii
; %bb.0:
	s_load_dword s0, s[4:5], 0xd4
	s_load_dwordx8 s[8:15], s[4:5], 0x88
	s_add_u32 s2, s4, 0xc8
	s_addc_u32 s3, s5, 0
	v_mov_b32_e32 v7, 0
	s_waitcnt lgkmcnt(0)
	s_and_b32 s7, s0, 0xffff
	s_mul_hi_u32 s33, s7, s6
	s_mul_i32 s36, s7, s6
	v_mov_b32_e32 v2, s33
	v_add_co_u32_e32 v1, vcc, s36, v0
	v_addc_co_u32_e32 v2, vcc, 0, v2, vcc
	s_ashr_i32 s21, s9, 31
	s_mov_b32 s20, s9
	v_cmp_gt_i64_e32 vcc, s[20:21], v[1:2]
	s_and_saveexec_b64 s[0:1], vcc
	s_cbranch_execz .LBB14_9
; %bb.1:
	s_bitcmp1_b32 s8, 0
	s_cselect_b64 s[8:9], -1, 0
	s_cmp_lg_u32 s11, 1
	s_cselect_b64 s[0:1], -1, 0
	s_abs_i32 s37, s14
	v_cvt_f32_u32_e32 v3, s37
	s_abs_i32 s39, s15
	v_cvt_f32_u32_e32 v4, s39
	s_load_dwordx4 s[16:19], s[4:5], 0xa8
	s_load_dwordx2 s[22:23], s[4:5], 0xb8
	v_rcp_iflag_f32_e32 v3, v3
	s_load_dwordx2 s[24:25], s[4:5], 0x0
	s_load_dwordx2 s[30:31], s[4:5], 0x28
	;; [unrolled: 1-line block ×4, first 2 shown]
	s_load_dword s6, s[2:3], 0x0
	v_rcp_iflag_f32_e32 v4, v4
	s_sub_i32 s2, 0, s37
	v_mul_f32_e32 v3, 0x4f7ffffe, v3
	v_cvt_u32_f32_e32 v3, v3
	s_abs_i32 s40, s10
	v_cvt_f32_u32_e32 v6, s40
	v_mul_f32_e32 v4, 0x4f7ffffe, v4
	v_mul_lo_u32 v5, s2, v3
	v_cvt_u32_f32_e32 v4, v4
	v_rcp_iflag_f32_e32 v6, v6
	s_sub_i32 s2, 0, s39
	v_mul_hi_u32 v5, v3, v5
	s_abs_i32 s42, s11
	v_mul_lo_u32 v9, s2, v4
	s_sub_i32 s2, 0, s40
	v_add_u32_e32 v8, v3, v5
	v_mul_f32_e32 v5, 0x4f7ffffe, v6
	v_cvt_f32_u32_e32 v6, s42
	v_mul_hi_u32 v3, v4, v9
	v_cvt_u32_f32_e32 v5, v5
	s_ashr_i32 s44, s10, 31
	v_rcp_iflag_f32_e32 v6, v6
	v_add_u32_e32 v9, v4, v3
	v_mul_lo_u32 v10, s2, v5
	s_sub_i32 s2, 0, s42
	v_mul_f32_e32 v4, 0x4f7ffffe, v6
	v_cvt_u32_f32_e32 v4, v4
	s_ashr_i32 s11, s11, 31
	s_waitcnt lgkmcnt(0)
	s_mul_i32 s38, s17, s16
	s_mul_i32 s16, s6, s7
	v_readfirstlane_b32 s3, v4
	s_mul_i32 s2, s2, s3
	s_mul_hi_u32 s2, s3, s2
	s_add_i32 s45, s3, s2
	s_mul_hi_u32 s3, s40, s45
	s_mul_i32 s4, s3, s42
	s_sub_i32 s4, s40, s4
	s_ashr_i32 s41, s14, 31
	s_ashr_i32 s43, s15, 31
	s_xor_b32 s2, s44, s11
	s_add_i32 s5, s3, 1
	s_sub_i32 s6, s4, s42
	v_mul_hi_u32 v3, v5, v10
	s_cmp_ge_u32 s4, s42
	s_cselect_b32 s3, s5, s3
	s_cselect_b32 s4, s6, s4
	s_add_i32 s5, s3, 1
	v_lshlrev_b64 v[1:2], 1, v[1:2]
	s_cmp_ge_u32 s4, s42
	v_add_u32_e32 v10, v5, v3
	s_cselect_b32 s3, s5, s3
	v_mov_b32_e32 v3, s31
	v_add_co_u32_e32 v1, vcc, s30, v1
	s_mov_b32 s17, 0
	s_xor_b32 s3, s3, s2
	v_addc_co_u32_e32 v2, vcc, v3, v2, vcc
	v_cndmask_b32_e64 v3, 0, 1, s[0:1]
	s_sub_i32 s46, s3, s2
	s_lshl_b64 s[30:31], s[16:17], 1
	s_sub_i32 s14, 0, s14
	s_mov_b64 s[34:35], 0
	s_movk_i32 s17, 0x7fff
	v_cmp_ne_u32_e64 s[0:1], 1, v3
	v_mov_b32_e32 v11, 0x7fc0
	s_branch .LBB14_3
.LBB14_2:                               ;   in Loop: Header=BB14_3 Depth=1
	s_or_b64 exec, exec, s[2:3]
	v_bfe_u32 v3, v15, 16, 1
	v_add3_u32 v3, v15, v3, s17
	v_cmp_o_f32_e32 vcc, v15, v15
	v_cndmask_b32_sdwa v3, v11, v3, vcc dst_sel:DWORD dst_unused:UNUSED_PAD src0_sel:DWORD src1_sel:WORD_1
	v_add_co_u32_e32 v0, vcc, s16, v0
	v_addc_co_u32_e32 v7, vcc, 0, v7, vcc
	global_store_short v[1:2], v3, off
	v_mov_b32_e32 v4, s33
	v_add_co_u32_e32 v3, vcc, s36, v0
	v_addc_co_u32_e32 v4, vcc, v4, v7, vcc
	v_cmp_le_i64_e32 vcc, s[20:21], v[3:4]
	v_mov_b32_e32 v3, s31
	s_or_b64 s[34:35], vcc, s[34:35]
	v_add_co_u32_e32 v1, vcc, s30, v1
	v_addc_co_u32_e32 v2, vcc, v2, v3, vcc
	s_andn2_b64 exec, exec, s[34:35]
	s_cbranch_execz .LBB14_9
.LBB14_3:                               ; =>This Inner Loop Header: Depth=1
	v_add_co_u32_e32 v3, vcc, s36, v0
	v_sub_u32_e32 v4, 0, v3
	v_max_i32_e32 v4, v3, v4
	v_mul_hi_u32 v5, v4, v8
	v_ashrrev_i32_e32 v12, 31, v3
	v_xor_b32_e32 v12, s41, v12
	s_mov_b32 s47, s10
	v_mul_lo_u32 v6, v5, s37
	v_add_u32_e32 v13, 1, v5
	v_sub_u32_e32 v4, v4, v6
	v_cmp_le_u32_e32 vcc, s37, v4
	v_subrev_u32_e32 v6, s37, v4
	v_cndmask_b32_e32 v5, v5, v13, vcc
	v_cndmask_b32_e32 v4, v4, v6, vcc
	v_add_u32_e32 v6, 1, v5
	v_cmp_le_u32_e32 vcc, s37, v4
	v_cndmask_b32_e32 v4, v5, v6, vcc
	v_xor_b32_e32 v4, v4, v12
	v_sub_u32_e32 v12, v4, v12
	v_sub_u32_e32 v4, 0, v12
	v_max_i32_e32 v4, v12, v4
	v_mul_hi_u32 v5, v4, v9
	v_ashrrev_i32_e32 v13, 31, v12
	v_xor_b32_e32 v13, s43, v13
	v_mul_lo_u32 v6, v5, s39
	v_add_u32_e32 v14, 1, v5
	v_sub_u32_e32 v4, v4, v6
	v_cmp_le_u32_e32 vcc, s39, v4
	v_subrev_u32_e32 v6, s39, v4
	v_cndmask_b32_e32 v5, v5, v14, vcc
	v_cndmask_b32_e32 v4, v4, v6, vcc
	v_add_u32_e32 v6, 1, v5
	v_cmp_le_u32_e32 vcc, s39, v4
	v_cndmask_b32_e32 v4, v5, v6, vcc
	v_xor_b32_e32 v4, v4, v13
	v_sub_u32_e32 v14, v4, v13
	v_sub_u32_e32 v4, 0, v14
	v_max_i32_e32 v4, v14, v4
	v_mul_hi_u32 v5, v4, v10
	v_ashrrev_i32_e32 v13, 31, v14
	v_xor_b32_e32 v13, s44, v13
	v_mul_lo_u32 v6, v5, s40
	v_add_u32_e32 v15, 1, v5
	v_sub_u32_e32 v4, v4, v6
	v_cmp_le_u32_e32 vcc, s40, v4
	v_subrev_u32_e32 v6, s40, v4
	v_cndmask_b32_e32 v5, v5, v15, vcc
	v_cndmask_b32_e32 v4, v4, v6, vcc
	v_add_u32_e32 v6, 1, v5
	v_cmp_le_u32_e32 vcc, s40, v4
	v_cndmask_b32_e32 v4, v5, v6, vcc
	v_xor_b32_e32 v4, v4, v13
	v_sub_u32_e32 v13, v4, v13
	v_mul_lo_u32 v4, v13, s10
	s_and_b64 vcc, exec, s[0:1]
	v_sub_u32_e32 v4, v14, v4
	v_ashrrev_i32_e32 v5, 31, v4
	v_mov_b32_e32 v6, v4
	s_cbranch_vccnz .LBB14_5
; %bb.4:                                ;   in Loop: Header=BB14_3 Depth=1
	v_sub_u32_e32 v6, 0, v4
	v_max_i32_e32 v6, v4, v6
	v_mul_hi_u32 v15, v6, s45
	v_xor_b32_e32 v17, s11, v5
	s_mov_b32 s47, s46
	v_mul_lo_u32 v16, v15, s42
	v_add_u32_e32 v18, 1, v15
	v_sub_u32_e32 v6, v6, v16
	v_cmp_le_u32_e32 vcc, s42, v6
	v_subrev_u32_e32 v16, s42, v6
	v_cndmask_b32_e32 v15, v15, v18, vcc
	v_cndmask_b32_e32 v6, v6, v16, vcc
	v_add_u32_e32 v16, 1, v15
	v_cmp_le_u32_e32 vcc, s42, v6
	v_cndmask_b32_e32 v6, v15, v16, vcc
	v_xor_b32_e32 v6, v6, v17
	v_sub_u32_e32 v6, v6, v17
.LBB14_5:                               ;   in Loop: Header=BB14_3 Depth=1
	s_andn2_b64 vcc, exec, s[8:9]
	v_mov_b32_e32 v15, 0
	s_cbranch_vccnz .LBB14_7
; %bb.6:                                ;   in Loop: Header=BB14_3 Depth=1
	v_lshlrev_b64 v[15:16], 1, v[4:5]
	v_mov_b32_e32 v5, s29
	v_add_co_u32_e32 v15, vcc, s28, v15
	v_addc_co_u32_e32 v16, vcc, v5, v16, vcc
	global_load_ushort v5, v[15:16], off
	s_waitcnt vmcnt(0)
	v_lshlrev_b32_e32 v15, 16, v5
.LBB14_7:                               ;   in Loop: Header=BB14_3 Depth=1
	v_mul_lo_u32 v5, v14, s15
	v_mad_u64_u32 v[16:17], s[2:3], s14, v12, v[3:4]
	v_sub_u32_e32 v3, v12, v5
	v_mul_lo_u32 v5, v16, s18
	v_mul_lo_u32 v12, v3, s19
	v_subrev_u32_e32 v3, s22, v5
	v_subrev_u32_e32 v5, s23, v12
	v_cmp_gt_i32_e32 vcc, 0, v3
	v_cmp_gt_i32_e64 s[2:3], 0, v5
	v_cmp_le_i32_e64 s[4:5], s13, v5
	v_cmp_le_i32_e64 s[6:7], s12, v3
	s_or_b64 s[6:7], vcc, s[6:7]
	s_or_b64 s[2:3], s[2:3], s[4:5]
	s_nor_b64 s[4:5], s[2:3], s[6:7]
	s_and_saveexec_b64 s[2:3], s[4:5]
	s_cbranch_execz .LBB14_2
; %bb.8:                                ;   in Loop: Header=BB14_3 Depth=1
	v_mad_u64_u32 v[12:13], s[4:5], s47, v13, v[6:7]
	v_mul_lo_u32 v4, s38, v4
	v_mov_b32_e32 v14, s25
	v_mad_u64_u32 v[5:6], s[4:5], v12, s13, v[5:6]
	v_mad_u64_u32 v[12:13], s[4:5], v5, s12, v[3:4]
	v_ashrrev_i32_e32 v5, 31, v4
	v_lshlrev_b64 v[3:4], 1, v[4:5]
	v_ashrrev_i32_e32 v13, 31, v12
	v_lshlrev_b64 v[5:6], 1, v[12:13]
	v_mov_b32_e32 v12, s27
	v_add_co_u32_e32 v5, vcc, s24, v5
	v_addc_co_u32_e32 v6, vcc, v14, v6, vcc
	v_add_co_u32_e32 v3, vcc, s26, v3
	v_addc_co_u32_e32 v4, vcc, v12, v4, vcc
	global_load_ushort v12, v[5:6], off
	global_load_ushort v13, v[3:4], off
	s_waitcnt vmcnt(1)
	v_lshlrev_b32_e32 v3, 16, v12
	s_waitcnt vmcnt(0)
	v_lshlrev_b32_e32 v4, 16, v13
	v_fmac_f32_e32 v15, v4, v3
	s_branch .LBB14_2
.LBB14_9:
	s_endpgm
	.section	.rodata,"a",@progbits
	.p2align	6, 0x0
	.amdhsa_kernel _ZN2at6native12_GLOBAL__N_131conv_depthwise2d_forward_kernelILi1EN3c108BFloat16EiEEvN5torch10headeronly6detail27GenericPackedTensorAccessorINS7_14TensorAccessorINS3_8ArrayRefIlEEKT0_Lm3ENS6_16DefaultPtrTraitsEiEENS_6detail16IndexBoundsCheckILm4EiEESD_Lm4ESE_iEENS8_INS9_ISB_SC_Lm3ESE_iEESI_SC_Lm4ESE_iEESJ_NS8_INS9_ISB_SD_Lm0ESE_iEENSH_ILm1EiEESD_Lm1ESE_iEEbT1_iiiiiiiiiiiiii
		.amdhsa_group_segment_fixed_size 0
		.amdhsa_private_segment_fixed_size 0
		.amdhsa_kernarg_size 456
		.amdhsa_user_sgpr_count 6
		.amdhsa_user_sgpr_private_segment_buffer 1
		.amdhsa_user_sgpr_dispatch_ptr 0
		.amdhsa_user_sgpr_queue_ptr 0
		.amdhsa_user_sgpr_kernarg_segment_ptr 1
		.amdhsa_user_sgpr_dispatch_id 0
		.amdhsa_user_sgpr_flat_scratch_init 0
		.amdhsa_user_sgpr_private_segment_size 0
		.amdhsa_uses_dynamic_stack 0
		.amdhsa_system_sgpr_private_segment_wavefront_offset 0
		.amdhsa_system_sgpr_workgroup_id_x 1
		.amdhsa_system_sgpr_workgroup_id_y 0
		.amdhsa_system_sgpr_workgroup_id_z 0
		.amdhsa_system_sgpr_workgroup_info 0
		.amdhsa_system_vgpr_workitem_id 0
		.amdhsa_next_free_vgpr 19
		.amdhsa_next_free_sgpr 48
		.amdhsa_reserve_vcc 1
		.amdhsa_reserve_flat_scratch 0
		.amdhsa_float_round_mode_32 0
		.amdhsa_float_round_mode_16_64 0
		.amdhsa_float_denorm_mode_32 3
		.amdhsa_float_denorm_mode_16_64 3
		.amdhsa_dx10_clamp 1
		.amdhsa_ieee_mode 1
		.amdhsa_fp16_overflow 0
		.amdhsa_exception_fp_ieee_invalid_op 0
		.amdhsa_exception_fp_denorm_src 0
		.amdhsa_exception_fp_ieee_div_zero 0
		.amdhsa_exception_fp_ieee_overflow 0
		.amdhsa_exception_fp_ieee_underflow 0
		.amdhsa_exception_fp_ieee_inexact 0
		.amdhsa_exception_int_div_zero 0
	.end_amdhsa_kernel
	.section	.text._ZN2at6native12_GLOBAL__N_131conv_depthwise2d_forward_kernelILi1EN3c108BFloat16EiEEvN5torch10headeronly6detail27GenericPackedTensorAccessorINS7_14TensorAccessorINS3_8ArrayRefIlEEKT0_Lm3ENS6_16DefaultPtrTraitsEiEENS_6detail16IndexBoundsCheckILm4EiEESD_Lm4ESE_iEENS8_INS9_ISB_SC_Lm3ESE_iEESI_SC_Lm4ESE_iEESJ_NS8_INS9_ISB_SD_Lm0ESE_iEENSH_ILm1EiEESD_Lm1ESE_iEEbT1_iiiiiiiiiiiiii,"axG",@progbits,_ZN2at6native12_GLOBAL__N_131conv_depthwise2d_forward_kernelILi1EN3c108BFloat16EiEEvN5torch10headeronly6detail27GenericPackedTensorAccessorINS7_14TensorAccessorINS3_8ArrayRefIlEEKT0_Lm3ENS6_16DefaultPtrTraitsEiEENS_6detail16IndexBoundsCheckILm4EiEESD_Lm4ESE_iEENS8_INS9_ISB_SC_Lm3ESE_iEESI_SC_Lm4ESE_iEESJ_NS8_INS9_ISB_SD_Lm0ESE_iEENSH_ILm1EiEESD_Lm1ESE_iEEbT1_iiiiiiiiiiiiii,comdat
.Lfunc_end14:
	.size	_ZN2at6native12_GLOBAL__N_131conv_depthwise2d_forward_kernelILi1EN3c108BFloat16EiEEvN5torch10headeronly6detail27GenericPackedTensorAccessorINS7_14TensorAccessorINS3_8ArrayRefIlEEKT0_Lm3ENS6_16DefaultPtrTraitsEiEENS_6detail16IndexBoundsCheckILm4EiEESD_Lm4ESE_iEENS8_INS9_ISB_SC_Lm3ESE_iEESI_SC_Lm4ESE_iEESJ_NS8_INS9_ISB_SD_Lm0ESE_iEENSH_ILm1EiEESD_Lm1ESE_iEEbT1_iiiiiiiiiiiiii, .Lfunc_end14-_ZN2at6native12_GLOBAL__N_131conv_depthwise2d_forward_kernelILi1EN3c108BFloat16EiEEvN5torch10headeronly6detail27GenericPackedTensorAccessorINS7_14TensorAccessorINS3_8ArrayRefIlEEKT0_Lm3ENS6_16DefaultPtrTraitsEiEENS_6detail16IndexBoundsCheckILm4EiEESD_Lm4ESE_iEENS8_INS9_ISB_SC_Lm3ESE_iEESI_SC_Lm4ESE_iEESJ_NS8_INS9_ISB_SD_Lm0ESE_iEENSH_ILm1EiEESD_Lm1ESE_iEEbT1_iiiiiiiiiiiiii
                                        ; -- End function
	.set _ZN2at6native12_GLOBAL__N_131conv_depthwise2d_forward_kernelILi1EN3c108BFloat16EiEEvN5torch10headeronly6detail27GenericPackedTensorAccessorINS7_14TensorAccessorINS3_8ArrayRefIlEEKT0_Lm3ENS6_16DefaultPtrTraitsEiEENS_6detail16IndexBoundsCheckILm4EiEESD_Lm4ESE_iEENS8_INS9_ISB_SC_Lm3ESE_iEESI_SC_Lm4ESE_iEESJ_NS8_INS9_ISB_SD_Lm0ESE_iEENSH_ILm1EiEESD_Lm1ESE_iEEbT1_iiiiiiiiiiiiii.num_vgpr, 19
	.set _ZN2at6native12_GLOBAL__N_131conv_depthwise2d_forward_kernelILi1EN3c108BFloat16EiEEvN5torch10headeronly6detail27GenericPackedTensorAccessorINS7_14TensorAccessorINS3_8ArrayRefIlEEKT0_Lm3ENS6_16DefaultPtrTraitsEiEENS_6detail16IndexBoundsCheckILm4EiEESD_Lm4ESE_iEENS8_INS9_ISB_SC_Lm3ESE_iEESI_SC_Lm4ESE_iEESJ_NS8_INS9_ISB_SD_Lm0ESE_iEENSH_ILm1EiEESD_Lm1ESE_iEEbT1_iiiiiiiiiiiiii.num_agpr, 0
	.set _ZN2at6native12_GLOBAL__N_131conv_depthwise2d_forward_kernelILi1EN3c108BFloat16EiEEvN5torch10headeronly6detail27GenericPackedTensorAccessorINS7_14TensorAccessorINS3_8ArrayRefIlEEKT0_Lm3ENS6_16DefaultPtrTraitsEiEENS_6detail16IndexBoundsCheckILm4EiEESD_Lm4ESE_iEENS8_INS9_ISB_SC_Lm3ESE_iEESI_SC_Lm4ESE_iEESJ_NS8_INS9_ISB_SD_Lm0ESE_iEENSH_ILm1EiEESD_Lm1ESE_iEEbT1_iiiiiiiiiiiiii.numbered_sgpr, 48
	.set _ZN2at6native12_GLOBAL__N_131conv_depthwise2d_forward_kernelILi1EN3c108BFloat16EiEEvN5torch10headeronly6detail27GenericPackedTensorAccessorINS7_14TensorAccessorINS3_8ArrayRefIlEEKT0_Lm3ENS6_16DefaultPtrTraitsEiEENS_6detail16IndexBoundsCheckILm4EiEESD_Lm4ESE_iEENS8_INS9_ISB_SC_Lm3ESE_iEESI_SC_Lm4ESE_iEESJ_NS8_INS9_ISB_SD_Lm0ESE_iEENSH_ILm1EiEESD_Lm1ESE_iEEbT1_iiiiiiiiiiiiii.num_named_barrier, 0
	.set _ZN2at6native12_GLOBAL__N_131conv_depthwise2d_forward_kernelILi1EN3c108BFloat16EiEEvN5torch10headeronly6detail27GenericPackedTensorAccessorINS7_14TensorAccessorINS3_8ArrayRefIlEEKT0_Lm3ENS6_16DefaultPtrTraitsEiEENS_6detail16IndexBoundsCheckILm4EiEESD_Lm4ESE_iEENS8_INS9_ISB_SC_Lm3ESE_iEESI_SC_Lm4ESE_iEESJ_NS8_INS9_ISB_SD_Lm0ESE_iEENSH_ILm1EiEESD_Lm1ESE_iEEbT1_iiiiiiiiiiiiii.private_seg_size, 0
	.set _ZN2at6native12_GLOBAL__N_131conv_depthwise2d_forward_kernelILi1EN3c108BFloat16EiEEvN5torch10headeronly6detail27GenericPackedTensorAccessorINS7_14TensorAccessorINS3_8ArrayRefIlEEKT0_Lm3ENS6_16DefaultPtrTraitsEiEENS_6detail16IndexBoundsCheckILm4EiEESD_Lm4ESE_iEENS8_INS9_ISB_SC_Lm3ESE_iEESI_SC_Lm4ESE_iEESJ_NS8_INS9_ISB_SD_Lm0ESE_iEENSH_ILm1EiEESD_Lm1ESE_iEEbT1_iiiiiiiiiiiiii.uses_vcc, 1
	.set _ZN2at6native12_GLOBAL__N_131conv_depthwise2d_forward_kernelILi1EN3c108BFloat16EiEEvN5torch10headeronly6detail27GenericPackedTensorAccessorINS7_14TensorAccessorINS3_8ArrayRefIlEEKT0_Lm3ENS6_16DefaultPtrTraitsEiEENS_6detail16IndexBoundsCheckILm4EiEESD_Lm4ESE_iEENS8_INS9_ISB_SC_Lm3ESE_iEESI_SC_Lm4ESE_iEESJ_NS8_INS9_ISB_SD_Lm0ESE_iEENSH_ILm1EiEESD_Lm1ESE_iEEbT1_iiiiiiiiiiiiii.uses_flat_scratch, 0
	.set _ZN2at6native12_GLOBAL__N_131conv_depthwise2d_forward_kernelILi1EN3c108BFloat16EiEEvN5torch10headeronly6detail27GenericPackedTensorAccessorINS7_14TensorAccessorINS3_8ArrayRefIlEEKT0_Lm3ENS6_16DefaultPtrTraitsEiEENS_6detail16IndexBoundsCheckILm4EiEESD_Lm4ESE_iEENS8_INS9_ISB_SC_Lm3ESE_iEESI_SC_Lm4ESE_iEESJ_NS8_INS9_ISB_SD_Lm0ESE_iEENSH_ILm1EiEESD_Lm1ESE_iEEbT1_iiiiiiiiiiiiii.has_dyn_sized_stack, 0
	.set _ZN2at6native12_GLOBAL__N_131conv_depthwise2d_forward_kernelILi1EN3c108BFloat16EiEEvN5torch10headeronly6detail27GenericPackedTensorAccessorINS7_14TensorAccessorINS3_8ArrayRefIlEEKT0_Lm3ENS6_16DefaultPtrTraitsEiEENS_6detail16IndexBoundsCheckILm4EiEESD_Lm4ESE_iEENS8_INS9_ISB_SC_Lm3ESE_iEESI_SC_Lm4ESE_iEESJ_NS8_INS9_ISB_SD_Lm0ESE_iEENSH_ILm1EiEESD_Lm1ESE_iEEbT1_iiiiiiiiiiiiii.has_recursion, 0
	.set _ZN2at6native12_GLOBAL__N_131conv_depthwise2d_forward_kernelILi1EN3c108BFloat16EiEEvN5torch10headeronly6detail27GenericPackedTensorAccessorINS7_14TensorAccessorINS3_8ArrayRefIlEEKT0_Lm3ENS6_16DefaultPtrTraitsEiEENS_6detail16IndexBoundsCheckILm4EiEESD_Lm4ESE_iEENS8_INS9_ISB_SC_Lm3ESE_iEESI_SC_Lm4ESE_iEESJ_NS8_INS9_ISB_SD_Lm0ESE_iEENSH_ILm1EiEESD_Lm1ESE_iEEbT1_iiiiiiiiiiiiii.has_indirect_call, 0
	.section	.AMDGPU.csdata,"",@progbits
; Kernel info:
; codeLenInByte = 1188
; TotalNumSgprs: 52
; NumVgprs: 19
; ScratchSize: 0
; MemoryBound: 0
; FloatMode: 240
; IeeeMode: 1
; LDSByteSize: 0 bytes/workgroup (compile time only)
; SGPRBlocks: 6
; VGPRBlocks: 4
; NumSGPRsForWavesPerEU: 52
; NumVGPRsForWavesPerEU: 19
; Occupancy: 10
; WaveLimiterHint : 0
; COMPUTE_PGM_RSRC2:SCRATCH_EN: 0
; COMPUTE_PGM_RSRC2:USER_SGPR: 6
; COMPUTE_PGM_RSRC2:TRAP_HANDLER: 0
; COMPUTE_PGM_RSRC2:TGID_X_EN: 1
; COMPUTE_PGM_RSRC2:TGID_Y_EN: 0
; COMPUTE_PGM_RSRC2:TGID_Z_EN: 0
; COMPUTE_PGM_RSRC2:TIDIG_COMP_CNT: 0
	.section	.text._ZN2at6native12_GLOBAL__N_139conv_depthwise2d_forward_kernel_genericIN3c108BFloat16EiEEvN5torch10headeronly6detail27GenericPackedTensorAccessorINS7_14TensorAccessorINS3_8ArrayRefIlEEKT_Lm3ENS6_16DefaultPtrTraitsEiEENS_6detail16IndexBoundsCheckILm4EiEESD_Lm4ESE_iEENS8_INS9_ISB_SC_Lm3ESE_iEESI_SC_Lm4ESE_iEESJ_NS8_INS9_ISB_SD_Lm0ESE_iEENSH_ILm1EiEESD_Lm1ESE_iEEbT0_iiiiiiiiiiiiii,"axG",@progbits,_ZN2at6native12_GLOBAL__N_139conv_depthwise2d_forward_kernel_genericIN3c108BFloat16EiEEvN5torch10headeronly6detail27GenericPackedTensorAccessorINS7_14TensorAccessorINS3_8ArrayRefIlEEKT_Lm3ENS6_16DefaultPtrTraitsEiEENS_6detail16IndexBoundsCheckILm4EiEESD_Lm4ESE_iEENS8_INS9_ISB_SC_Lm3ESE_iEESI_SC_Lm4ESE_iEESJ_NS8_INS9_ISB_SD_Lm0ESE_iEENSH_ILm1EiEESD_Lm1ESE_iEEbT0_iiiiiiiiiiiiii,comdat
	.globl	_ZN2at6native12_GLOBAL__N_139conv_depthwise2d_forward_kernel_genericIN3c108BFloat16EiEEvN5torch10headeronly6detail27GenericPackedTensorAccessorINS7_14TensorAccessorINS3_8ArrayRefIlEEKT_Lm3ENS6_16DefaultPtrTraitsEiEENS_6detail16IndexBoundsCheckILm4EiEESD_Lm4ESE_iEENS8_INS9_ISB_SC_Lm3ESE_iEESI_SC_Lm4ESE_iEESJ_NS8_INS9_ISB_SD_Lm0ESE_iEENSH_ILm1EiEESD_Lm1ESE_iEEbT0_iiiiiiiiiiiiii ; -- Begin function _ZN2at6native12_GLOBAL__N_139conv_depthwise2d_forward_kernel_genericIN3c108BFloat16EiEEvN5torch10headeronly6detail27GenericPackedTensorAccessorINS7_14TensorAccessorINS3_8ArrayRefIlEEKT_Lm3ENS6_16DefaultPtrTraitsEiEENS_6detail16IndexBoundsCheckILm4EiEESD_Lm4ESE_iEENS8_INS9_ISB_SC_Lm3ESE_iEESI_SC_Lm4ESE_iEESJ_NS8_INS9_ISB_SD_Lm0ESE_iEENSH_ILm1EiEESD_Lm1ESE_iEEbT0_iiiiiiiiiiiiii
	.p2align	8
	.type	_ZN2at6native12_GLOBAL__N_139conv_depthwise2d_forward_kernel_genericIN3c108BFloat16EiEEvN5torch10headeronly6detail27GenericPackedTensorAccessorINS7_14TensorAccessorINS3_8ArrayRefIlEEKT_Lm3ENS6_16DefaultPtrTraitsEiEENS_6detail16IndexBoundsCheckILm4EiEESD_Lm4ESE_iEENS8_INS9_ISB_SC_Lm3ESE_iEESI_SC_Lm4ESE_iEESJ_NS8_INS9_ISB_SD_Lm0ESE_iEENSH_ILm1EiEESD_Lm1ESE_iEEbT0_iiiiiiiiiiiiii,@function
_ZN2at6native12_GLOBAL__N_139conv_depthwise2d_forward_kernel_genericIN3c108BFloat16EiEEvN5torch10headeronly6detail27GenericPackedTensorAccessorINS7_14TensorAccessorINS3_8ArrayRefIlEEKT_Lm3ENS6_16DefaultPtrTraitsEiEENS_6detail16IndexBoundsCheckILm4EiEESD_Lm4ESE_iEENS8_INS9_ISB_SC_Lm3ESE_iEESI_SC_Lm4ESE_iEESJ_NS8_INS9_ISB_SD_Lm0ESE_iEENSH_ILm1EiEESD_Lm1ESE_iEEbT0_iiiiiiiiiiiiii: ; @_ZN2at6native12_GLOBAL__N_139conv_depthwise2d_forward_kernel_genericIN3c108BFloat16EiEEvN5torch10headeronly6detail27GenericPackedTensorAccessorINS7_14TensorAccessorINS3_8ArrayRefIlEEKT_Lm3ENS6_16DefaultPtrTraitsEiEENS_6detail16IndexBoundsCheckILm4EiEESD_Lm4ESE_iEENS8_INS9_ISB_SC_Lm3ESE_iEESI_SC_Lm4ESE_iEESJ_NS8_INS9_ISB_SD_Lm0ESE_iEENSH_ILm1EiEESD_Lm1ESE_iEEbT0_iiiiiiiiiiiiii
; %bb.0:
	s_load_dword s0, s[4:5], 0xd4
	s_load_dwordx16 s[8:23], s[4:5], 0x88
	s_add_u32 s2, s4, 0xc8
	s_addc_u32 s3, s5, 0
	v_mov_b32_e32 v1, 0
	s_waitcnt lgkmcnt(0)
	s_and_b32 s34, s0, 0xffff
	v_mov_b32_e32 v2, s6
	v_mad_u64_u32 v[0:1], s[0:1], s34, v2, v[0:1]
	s_ashr_i32 s7, s9, 31
	s_mov_b32 s6, s9
	v_cmp_gt_i64_e32 vcc, s[6:7], v[0:1]
	s_and_saveexec_b64 s[0:1], vcc
	s_cbranch_execz .LBB15_23
; %bb.1:
	s_bitcmp1_b32 s8, 0
	s_cselect_b64 s[8:9], -1, 0
	s_cmp_lg_u32 s11, 1
	s_cselect_b64 s[0:1], -1, 0
	s_abs_i32 s33, s14
	v_cvt_f32_u32_e32 v2, s33
	s_load_dwordx2 s[24:25], s[4:5], 0x0
	s_load_dwordx2 s[26:27], s[4:5], 0x28
	;; [unrolled: 1-line block ×4, first 2 shown]
	s_load_dword s35, s[2:3], 0x0
	s_sub_i32 s3, 0, s33
	s_abs_i32 s43, s15
	v_rcp_iflag_f32_e32 v2, v2
	v_cvt_f32_u32_e32 v4, s43
	s_abs_i32 s48, s10
	s_abs_i32 s49, s11
	v_mul_f32_e32 v2, 0x4f7ffffe, v2
	v_cvt_u32_f32_e32 v2, v2
	v_cvt_f32_u32_e32 v5, s49
	v_rcp_iflag_f32_e32 v4, v4
	s_add_i32 s2, s17, -1
	v_mul_lo_u32 v3, s3, v2
	v_rcp_iflag_f32_e32 v5, v5
	s_mul_i32 s2, s23, s2
	s_sub_i32 s42, s2, s13
	v_mul_hi_u32 v3, v2, v3
	v_mul_f32_e32 v5, 0x4f7ffffe, v5
	s_add_i32 s2, s16, -1
	v_cvt_u32_f32_e32 v5, v5
	v_add_u32_e32 v9, v2, v3
	v_cvt_f32_u32_e32 v3, s48
	v_mul_f32_e32 v2, 0x4f7ffffe, v4
	v_cvt_u32_f32_e32 v2, v2
	s_mul_i32 s2, s22, s2
	v_rcp_iflag_f32_e32 v3, v3
	s_sub_i32 s44, s2, s12
	s_sub_i32 s2, 0, s43
	v_mul_lo_u32 v4, s2, v2
	v_mul_f32_e32 v3, 0x4f7ffffe, v3
	v_cvt_u32_f32_e32 v3, v3
	s_sub_i32 s2, 0, s48
	v_readfirstlane_b32 s3, v5
	s_ashr_i32 s50, s10, 31
	v_mul_lo_u32 v6, s2, v3
	s_sub_i32 s2, 0, s49
	s_mul_i32 s2, s2, s3
	s_mul_hi_u32 s2, s3, s2
	s_add_i32 s51, s3, s2
	s_mul_hi_u32 s3, s48, s51
	s_mul_i32 s4, s3, s49
	s_ashr_i32 s11, s11, 31
	s_sub_i32 s4, s48, s4
	s_waitcnt lgkmcnt(0)
	s_mul_i32 s45, s35, s34
	s_ashr_i32 s46, s14, 31
	s_ashr_i32 s47, s15, 31
	s_xor_b32 s2, s50, s11
	s_add_i32 s5, s3, 1
	s_sub_i32 s34, s4, s49
	s_cmp_ge_u32 s4, s49
	s_cselect_b32 s3, s5, s3
	s_cselect_b32 s4, s34, s4
	s_add_i32 s5, s3, 1
	s_cmp_ge_u32 s4, s49
	s_cselect_b32 s3, s5, s3
	s_abs_i32 s52, s23
	v_cvt_f32_u32_e32 v5, s52
	s_abs_i32 s53, s22
	v_mul_hi_u32 v4, v2, v4
	v_cvt_f32_u32_e32 v7, s53
	v_mul_hi_u32 v6, v3, v6
	v_rcp_iflag_f32_e32 v5, v5
	v_add_u32_e32 v10, v2, v4
	v_rcp_iflag_f32_e32 v2, v7
	v_add_u32_e32 v11, v3, v6
	v_mul_f32_e32 v3, 0x4f7ffffe, v5
	v_cvt_u32_f32_e32 v3, v3
	v_mul_f32_e32 v2, 0x4f7ffffe, v2
	v_cvt_u32_f32_e32 v2, v2
	s_sub_i32 s4, 0, s52
	v_mul_lo_u32 v4, s4, v3
	s_sub_i32 s4, 0, s53
	v_mul_lo_u32 v5, s4, v2
	s_xor_b32 s3, s3, s2
	v_mul_hi_u32 v4, v3, v4
	s_sub_i32 s54, s3, s2
	v_mul_hi_u32 v5, v2, v5
	s_ashr_i32 s55, s23, 31
	v_add_u32_e32 v12, v3, v4
	s_ashr_i32 s56, s22, 31
	v_add_u32_e32 v13, v2, v5
	v_cndmask_b32_e64 v2, 0, 1, s[0:1]
	s_sub_i32 s57, 0, s20
	s_sub_i32 s58, 0, s21
	s_mul_i32 s59, s23, s12
	s_mov_b64 s[4:5], 0
	v_cmp_ne_u32_e64 s[0:1], 1, v2
	s_movk_i32 s60, 0x7fff
	v_mov_b32_e32 v14, 0x7fc0
	s_branch .LBB15_4
.LBB15_2:                               ;   in Loop: Header=BB15_4 Depth=1
	s_or_b64 exec, exec, s[36:37]
.LBB15_3:                               ;   in Loop: Header=BB15_4 Depth=1
	s_or_b64 exec, exec, s[34:35]
	v_bfe_u32 v2, v17, 16, 1
	v_add3_u32 v2, v17, v2, s60
	v_cmp_o_f32_e32 vcc, v17, v17
	v_cndmask_b32_sdwa v4, v14, v2, vcc dst_sel:DWORD dst_unused:UNUSED_PAD src0_sel:DWORD src1_sel:WORD_1
	v_lshlrev_b64 v[2:3], 1, v[0:1]
	v_add_co_u32_e32 v0, vcc, s45, v0
	v_addc_co_u32_e32 v1, vcc, 0, v1, vcc
	v_cmp_le_i64_e32 vcc, s[6:7], v[0:1]
	v_mov_b32_e32 v5, s27
	v_add_co_u32_e64 v2, s[2:3], s26, v2
	v_addc_co_u32_e64 v3, s[2:3], v5, v3, s[2:3]
	s_or_b64 s[4:5], vcc, s[4:5]
	global_store_short v[2:3], v4, off
	s_andn2_b64 exec, exec, s[4:5]
	s_cbranch_execz .LBB15_23
.LBB15_4:                               ; =>This Loop Header: Depth=1
                                        ;     Child Loop BB15_19 Depth 2
                                        ;       Child Loop BB15_21 Depth 3
	v_sub_u32_e32 v2, 0, v0
	v_max_i32_e32 v2, v0, v2
	v_mul_hi_u32 v3, v2, v9
	v_ashrrev_i32_e32 v5, 31, v0
	v_xor_b32_e32 v5, s46, v5
	s_mov_b32 s36, s10
	v_mul_lo_u32 v4, v3, s33
	v_add_u32_e32 v6, 1, v3
	v_sub_u32_e32 v2, v2, v4
	v_cmp_le_u32_e32 vcc, s33, v2
	v_subrev_u32_e32 v4, s33, v2
	v_cndmask_b32_e32 v3, v3, v6, vcc
	v_cndmask_b32_e32 v2, v2, v4, vcc
	v_add_u32_e32 v4, 1, v3
	v_cmp_le_u32_e32 vcc, s33, v2
	v_cndmask_b32_e32 v2, v3, v4, vcc
	v_xor_b32_e32 v2, v2, v5
	v_sub_u32_e32 v6, v2, v5
	v_sub_u32_e32 v2, 0, v6
	v_max_i32_e32 v2, v6, v2
	v_mul_hi_u32 v3, v2, v10
	v_ashrrev_i32_e32 v5, 31, v6
	v_xor_b32_e32 v5, s47, v5
	v_mul_lo_u32 v4, v3, s43
	v_add_u32_e32 v7, 1, v3
	v_sub_u32_e32 v2, v2, v4
	v_cmp_le_u32_e32 vcc, s43, v2
	v_subrev_u32_e32 v4, s43, v2
	v_cndmask_b32_e32 v3, v3, v7, vcc
	v_cndmask_b32_e32 v2, v2, v4, vcc
	v_add_u32_e32 v4, 1, v3
	v_cmp_le_u32_e32 vcc, s43, v2
	v_cndmask_b32_e32 v2, v3, v4, vcc
	v_xor_b32_e32 v2, v2, v5
	v_sub_u32_e32 v2, v2, v5
	v_sub_u32_e32 v3, 0, v2
	v_max_i32_e32 v3, v2, v3
	v_mul_hi_u32 v4, v3, v11
	v_ashrrev_i32_e32 v7, 31, v2
	v_xor_b32_e32 v7, s50, v7
	v_mul_lo_u32 v5, v4, s48
	v_add_u32_e32 v8, 1, v4
	v_sub_u32_e32 v3, v3, v5
	v_cmp_le_u32_e32 vcc, s48, v3
	v_subrev_u32_e32 v5, s48, v3
	v_cndmask_b32_e32 v4, v4, v8, vcc
	v_cndmask_b32_e32 v3, v3, v5, vcc
	v_add_u32_e32 v5, 1, v4
	v_cmp_le_u32_e32 vcc, s48, v3
	v_cndmask_b32_e32 v3, v4, v5, vcc
	v_xor_b32_e32 v3, v3, v7
	v_sub_u32_e32 v7, v3, v7
	v_mul_lo_u32 v3, v7, s10
	s_and_b64 vcc, exec, s[0:1]
	v_sub_u32_e32 v3, v2, v3
	v_ashrrev_i32_e32 v4, 31, v3
	v_mov_b32_e32 v5, v3
	s_cbranch_vccnz .LBB15_6
; %bb.5:                                ;   in Loop: Header=BB15_4 Depth=1
	v_sub_u32_e32 v5, 0, v3
	v_max_i32_e32 v5, v3, v5
	v_mul_hi_u32 v8, v5, s51
	v_xor_b32_e32 v16, s11, v4
	s_mov_b32 s36, s54
	v_mul_lo_u32 v15, v8, s49
	v_add_u32_e32 v17, 1, v8
	v_sub_u32_e32 v5, v5, v15
	v_cmp_le_u32_e32 vcc, s49, v5
	v_subrev_u32_e32 v15, s49, v5
	v_cndmask_b32_e32 v8, v8, v17, vcc
	v_cndmask_b32_e32 v5, v5, v15, vcc
	v_add_u32_e32 v15, 1, v8
	v_cmp_le_u32_e32 vcc, s49, v5
	v_cndmask_b32_e32 v5, v8, v15, vcc
	v_xor_b32_e32 v5, v5, v16
	v_sub_u32_e32 v5, v5, v16
.LBB15_6:                               ;   in Loop: Header=BB15_4 Depth=1
	v_mul_lo_u32 v2, v2, s15
	v_sub_u32_e32 v2, v6, v2
	v_mul_lo_u32 v8, v2, s19
	v_mov_b32_e32 v2, 0
	v_subrev_u32_e32 v15, s21, v8
	v_cmp_gt_i32_e32 vcc, 0, v15
	s_and_saveexec_b64 s[2:3], vcc
	s_cbranch_execz .LBB15_8
; %bb.7:                                ;   in Loop: Header=BB15_4 Depth=1
	v_sub_u32_e32 v2, 0, v15
	v_max_i32_e32 v16, v2, v15
	v_mul_hi_u32 v17, v16, v12
	v_ashrrev_i32_e32 v19, 31, v2
	v_xor_b32_e32 v19, s55, v19
	v_mul_lo_u32 v18, v17, s52
	v_add_u32_e32 v20, 1, v17
	v_sub_u32_e32 v16, v16, v18
	v_cmp_le_u32_e32 vcc, s52, v16
	v_subrev_u32_e32 v18, s52, v16
	v_cndmask_b32_e32 v17, v17, v20, vcc
	v_cndmask_b32_e32 v16, v16, v18, vcc
	v_add_u32_e32 v18, 1, v17
	v_cmp_le_u32_e32 vcc, s52, v16
	v_cndmask_b32_e32 v16, v17, v18, vcc
	v_xor_b32_e32 v16, v16, v19
	v_sub_u32_e32 v16, v16, v19
	v_mul_lo_u32 v17, v16, s23
	v_sub_u32_e32 v2, v2, v17
	v_cmp_ne_u32_e32 vcc, 0, v2
	v_addc_co_u32_e32 v2, vcc, 0, v16, vcc
.LBB15_8:                               ;   in Loop: Header=BB15_4 Depth=1
	s_or_b64 exec, exec, s[2:3]
	v_add_u32_e32 v16, s42, v15
	v_cmp_lt_i32_e32 vcc, -2, v16
	v_mov_b32_e32 v15, s17
	s_and_saveexec_b64 s[2:3], vcc
	s_cbranch_execz .LBB15_10
; %bb.9:                                ;   in Loop: Header=BB15_4 Depth=1
	v_add_u32_e32 v15, 1, v16
	v_not_b32_e32 v16, v16
	v_max_i32_e32 v16, v15, v16
	v_mul_hi_u32 v17, v16, v12
	v_ashrrev_i32_e32 v19, 31, v15
	v_xor_b32_e32 v19, s55, v19
	v_mul_lo_u32 v18, v17, s52
	v_add_u32_e32 v20, 1, v17
	v_sub_u32_e32 v16, v16, v18
	v_cmp_le_u32_e32 vcc, s52, v16
	v_subrev_u32_e32 v18, s52, v16
	v_cndmask_b32_e32 v17, v17, v20, vcc
	v_cndmask_b32_e32 v16, v16, v18, vcc
	v_add_u32_e32 v18, 1, v17
	v_cmp_le_u32_e32 vcc, s52, v16
	v_cndmask_b32_e32 v16, v17, v18, vcc
	v_xor_b32_e32 v16, v16, v19
	v_sub_u32_e32 v16, v16, v19
	v_mul_lo_u32 v17, v16, s23
	v_mov_b32_e32 v18, s17
	v_sub_u32_e32 v15, v15, v17
	v_cmp_ne_u32_e32 vcc, 0, v15
	v_subb_co_u32_e32 v15, vcc, v18, v16, vcc
.LBB15_10:                              ;   in Loop: Header=BB15_4 Depth=1
	s_or_b64 exec, exec, s[2:3]
	v_mul_lo_u32 v6, v6, s14
	v_sub_u32_e32 v6, v0, v6
	v_mul_lo_u32 v18, v6, s18
	v_mov_b32_e32 v6, 0
	v_subrev_u32_e32 v16, s20, v18
	v_cmp_gt_i32_e32 vcc, 0, v16
	s_and_saveexec_b64 s[2:3], vcc
	s_cbranch_execz .LBB15_12
; %bb.11:                               ;   in Loop: Header=BB15_4 Depth=1
	v_sub_u32_e32 v6, 0, v16
	v_max_i32_e32 v17, v6, v16
	v_mul_hi_u32 v19, v17, v13
	v_ashrrev_i32_e32 v21, 31, v6
	v_xor_b32_e32 v21, s56, v21
	v_mul_lo_u32 v20, v19, s53
	v_add_u32_e32 v22, 1, v19
	v_sub_u32_e32 v17, v17, v20
	v_cmp_le_u32_e32 vcc, s53, v17
	v_subrev_u32_e32 v20, s53, v17
	v_cndmask_b32_e32 v19, v19, v22, vcc
	v_cndmask_b32_e32 v17, v17, v20, vcc
	v_add_u32_e32 v20, 1, v19
	v_cmp_le_u32_e32 vcc, s53, v17
	v_cndmask_b32_e32 v17, v19, v20, vcc
	v_xor_b32_e32 v17, v17, v21
	v_sub_u32_e32 v17, v17, v21
	v_mul_lo_u32 v19, v17, s22
	v_sub_u32_e32 v6, v6, v19
	v_cmp_ne_u32_e32 vcc, 0, v6
	v_addc_co_u32_e32 v6, vcc, 0, v17, vcc
.LBB15_12:                              ;   in Loop: Header=BB15_4 Depth=1
	s_or_b64 exec, exec, s[2:3]
	v_add_u32_e32 v17, s44, v16
	v_cmp_lt_i32_e32 vcc, -2, v17
	v_mov_b32_e32 v16, s16
	s_and_saveexec_b64 s[2:3], vcc
	s_cbranch_execnz .LBB15_15
; %bb.13:                               ;   in Loop: Header=BB15_4 Depth=1
	s_or_b64 exec, exec, s[2:3]
	s_andn2_b64 vcc, exec, s[8:9]
	v_mov_b32_e32 v17, 0
	s_cbranch_vccz .LBB15_16
.LBB15_14:                              ;   in Loop: Header=BB15_4 Depth=1
	v_cmp_lt_i32_e32 vcc, v2, v15
	s_and_saveexec_b64 s[34:35], vcc
	s_cbranch_execz .LBB15_3
	s_branch .LBB15_17
.LBB15_15:                              ;   in Loop: Header=BB15_4 Depth=1
	v_add_u32_e32 v16, 1, v17
	v_not_b32_e32 v17, v17
	v_max_i32_e32 v17, v16, v17
	v_mul_hi_u32 v19, v17, v13
	v_ashrrev_i32_e32 v21, 31, v16
	v_xor_b32_e32 v21, s56, v21
	v_mul_lo_u32 v20, v19, s53
	v_add_u32_e32 v22, 1, v19
	v_sub_u32_e32 v17, v17, v20
	v_cmp_le_u32_e32 vcc, s53, v17
	v_subrev_u32_e32 v20, s53, v17
	v_cndmask_b32_e32 v19, v19, v22, vcc
	v_cndmask_b32_e32 v17, v17, v20, vcc
	v_add_u32_e32 v20, 1, v19
	v_cmp_le_u32_e32 vcc, s53, v17
	v_cndmask_b32_e32 v17, v19, v20, vcc
	v_xor_b32_e32 v17, v17, v21
	v_sub_u32_e32 v17, v17, v21
	v_mul_lo_u32 v19, v17, s22
	v_mov_b32_e32 v20, s16
	v_sub_u32_e32 v16, v16, v19
	v_cmp_ne_u32_e32 vcc, 0, v16
	v_subb_co_u32_e32 v16, vcc, v20, v17, vcc
	s_or_b64 exec, exec, s[2:3]
	s_andn2_b64 vcc, exec, s[8:9]
	v_mov_b32_e32 v17, 0
	s_cbranch_vccnz .LBB15_14
.LBB15_16:                              ;   in Loop: Header=BB15_4 Depth=1
	v_lshlrev_b64 v[19:20], 1, v[3:4]
	v_mov_b32_e32 v4, s31
	v_add_co_u32_e32 v19, vcc, s30, v19
	v_addc_co_u32_e32 v20, vcc, v4, v20, vcc
	global_load_ushort v4, v[19:20], off
	s_waitcnt vmcnt(0)
	v_lshlrev_b32_e32 v17, 16, v4
	v_cmp_lt_i32_e32 vcc, v2, v15
	s_and_saveexec_b64 s[34:35], vcc
	s_cbranch_execz .LBB15_3
.LBB15_17:                              ;   in Loop: Header=BB15_4 Depth=1
	v_mad_u64_u32 v[4:5], s[2:3], s36, v7, v[5:6]
	v_mul_lo_u32 v5, s23, v2
	v_mul_lo_u32 v19, s22, v6
	;; [unrolled: 1-line block ×3, first 2 shown]
	v_mad_u64_u32 v[3:4], s[2:3], v3, s17, v[2:3]
	v_add_u32_e32 v4, s58, v5
	v_add3_u32 v4, v4, v8, v7
	v_mul_lo_u32 v5, s12, v4
	v_mad_u64_u32 v[3:4], s[2:3], s16, v3, v[6:7]
	v_add_u32_e32 v4, s57, v19
	v_cmp_lt_i32_e32 vcc, v6, v16
	v_add3_u32 v18, v4, v5, v18
	s_mov_b64 s[36:37], 0
	s_branch .LBB15_19
.LBB15_18:                              ;   in Loop: Header=BB15_19 Depth=2
	s_or_b64 exec, exec, s[38:39]
	v_add_u32_e32 v2, 1, v2
	v_cmp_ge_i32_e64 s[2:3], v2, v15
	v_add_u32_e32 v3, s16, v3
	s_or_b64 s[36:37], s[2:3], s[36:37]
	v_add_u32_e32 v18, s59, v18
	s_andn2_b64 exec, exec, s[36:37]
	s_cbranch_execz .LBB15_2
.LBB15_19:                              ;   Parent Loop BB15_4 Depth=1
                                        ; =>  This Loop Header: Depth=2
                                        ;       Child Loop BB15_21 Depth 3
	s_and_saveexec_b64 s[38:39], vcc
	s_cbranch_execz .LBB15_18
; %bb.20:                               ;   in Loop: Header=BB15_19 Depth=2
	v_ashrrev_i32_e32 v4, 31, v3
	v_lshlrev_b64 v[4:5], 1, v[3:4]
	v_mov_b32_e32 v7, s29
	v_add_co_u32_e64 v4, s[2:3], s28, v4
	v_addc_co_u32_e64 v5, s[2:3], v7, v5, s[2:3]
	s_mov_b64 s[40:41], 0
	v_mov_b32_e32 v7, v18
	v_mov_b32_e32 v19, v6
.LBB15_21:                              ;   Parent Loop BB15_4 Depth=1
                                        ;     Parent Loop BB15_19 Depth=2
                                        ; =>    This Inner Loop Header: Depth=3
	v_ashrrev_i32_e32 v8, 31, v7
	v_lshlrev_b64 v[20:21], 1, v[7:8]
	v_mov_b32_e32 v22, s25
	v_add_co_u32_e64 v20, s[2:3], s24, v20
	v_addc_co_u32_e64 v21, s[2:3], v22, v21, s[2:3]
	global_load_ushort v23, v[4:5], off
	global_load_ushort v8, v[20:21], off
	v_add_co_u32_e64 v4, s[2:3], 2, v4
	v_add_u32_e32 v19, 1, v19
	v_addc_co_u32_e64 v5, s[2:3], 0, v5, s[2:3]
	v_cmp_ge_i32_e64 s[2:3], v19, v16
	v_add_u32_e32 v7, s22, v7
	s_or_b64 s[40:41], s[2:3], s[40:41]
	s_waitcnt vmcnt(1)
	v_lshlrev_b32_e32 v20, 16, v23
	s_waitcnt vmcnt(0)
	v_lshlrev_b32_e32 v8, 16, v8
	v_fmac_f32_e32 v17, v20, v8
	s_andn2_b64 exec, exec, s[40:41]
	s_cbranch_execnz .LBB15_21
; %bb.22:                               ;   in Loop: Header=BB15_19 Depth=2
	s_or_b64 exec, exec, s[40:41]
	s_branch .LBB15_18
.LBB15_23:
	s_endpgm
	.section	.rodata,"a",@progbits
	.p2align	6, 0x0
	.amdhsa_kernel _ZN2at6native12_GLOBAL__N_139conv_depthwise2d_forward_kernel_genericIN3c108BFloat16EiEEvN5torch10headeronly6detail27GenericPackedTensorAccessorINS7_14TensorAccessorINS3_8ArrayRefIlEEKT_Lm3ENS6_16DefaultPtrTraitsEiEENS_6detail16IndexBoundsCheckILm4EiEESD_Lm4ESE_iEENS8_INS9_ISB_SC_Lm3ESE_iEESI_SC_Lm4ESE_iEESJ_NS8_INS9_ISB_SD_Lm0ESE_iEENSH_ILm1EiEESD_Lm1ESE_iEEbT0_iiiiiiiiiiiiii
		.amdhsa_group_segment_fixed_size 0
		.amdhsa_private_segment_fixed_size 0
		.amdhsa_kernarg_size 456
		.amdhsa_user_sgpr_count 6
		.amdhsa_user_sgpr_private_segment_buffer 1
		.amdhsa_user_sgpr_dispatch_ptr 0
		.amdhsa_user_sgpr_queue_ptr 0
		.amdhsa_user_sgpr_kernarg_segment_ptr 1
		.amdhsa_user_sgpr_dispatch_id 0
		.amdhsa_user_sgpr_flat_scratch_init 0
		.amdhsa_user_sgpr_private_segment_size 0
		.amdhsa_uses_dynamic_stack 0
		.amdhsa_system_sgpr_private_segment_wavefront_offset 0
		.amdhsa_system_sgpr_workgroup_id_x 1
		.amdhsa_system_sgpr_workgroup_id_y 0
		.amdhsa_system_sgpr_workgroup_id_z 0
		.amdhsa_system_sgpr_workgroup_info 0
		.amdhsa_system_vgpr_workitem_id 0
		.amdhsa_next_free_vgpr 24
		.amdhsa_next_free_sgpr 61
		.amdhsa_reserve_vcc 1
		.amdhsa_reserve_flat_scratch 0
		.amdhsa_float_round_mode_32 0
		.amdhsa_float_round_mode_16_64 0
		.amdhsa_float_denorm_mode_32 3
		.amdhsa_float_denorm_mode_16_64 3
		.amdhsa_dx10_clamp 1
		.amdhsa_ieee_mode 1
		.amdhsa_fp16_overflow 0
		.amdhsa_exception_fp_ieee_invalid_op 0
		.amdhsa_exception_fp_denorm_src 0
		.amdhsa_exception_fp_ieee_div_zero 0
		.amdhsa_exception_fp_ieee_overflow 0
		.amdhsa_exception_fp_ieee_underflow 0
		.amdhsa_exception_fp_ieee_inexact 0
		.amdhsa_exception_int_div_zero 0
	.end_amdhsa_kernel
	.section	.text._ZN2at6native12_GLOBAL__N_139conv_depthwise2d_forward_kernel_genericIN3c108BFloat16EiEEvN5torch10headeronly6detail27GenericPackedTensorAccessorINS7_14TensorAccessorINS3_8ArrayRefIlEEKT_Lm3ENS6_16DefaultPtrTraitsEiEENS_6detail16IndexBoundsCheckILm4EiEESD_Lm4ESE_iEENS8_INS9_ISB_SC_Lm3ESE_iEESI_SC_Lm4ESE_iEESJ_NS8_INS9_ISB_SD_Lm0ESE_iEENSH_ILm1EiEESD_Lm1ESE_iEEbT0_iiiiiiiiiiiiii,"axG",@progbits,_ZN2at6native12_GLOBAL__N_139conv_depthwise2d_forward_kernel_genericIN3c108BFloat16EiEEvN5torch10headeronly6detail27GenericPackedTensorAccessorINS7_14TensorAccessorINS3_8ArrayRefIlEEKT_Lm3ENS6_16DefaultPtrTraitsEiEENS_6detail16IndexBoundsCheckILm4EiEESD_Lm4ESE_iEENS8_INS9_ISB_SC_Lm3ESE_iEESI_SC_Lm4ESE_iEESJ_NS8_INS9_ISB_SD_Lm0ESE_iEENSH_ILm1EiEESD_Lm1ESE_iEEbT0_iiiiiiiiiiiiii,comdat
.Lfunc_end15:
	.size	_ZN2at6native12_GLOBAL__N_139conv_depthwise2d_forward_kernel_genericIN3c108BFloat16EiEEvN5torch10headeronly6detail27GenericPackedTensorAccessorINS7_14TensorAccessorINS3_8ArrayRefIlEEKT_Lm3ENS6_16DefaultPtrTraitsEiEENS_6detail16IndexBoundsCheckILm4EiEESD_Lm4ESE_iEENS8_INS9_ISB_SC_Lm3ESE_iEESI_SC_Lm4ESE_iEESJ_NS8_INS9_ISB_SD_Lm0ESE_iEENSH_ILm1EiEESD_Lm1ESE_iEEbT0_iiiiiiiiiiiiii, .Lfunc_end15-_ZN2at6native12_GLOBAL__N_139conv_depthwise2d_forward_kernel_genericIN3c108BFloat16EiEEvN5torch10headeronly6detail27GenericPackedTensorAccessorINS7_14TensorAccessorINS3_8ArrayRefIlEEKT_Lm3ENS6_16DefaultPtrTraitsEiEENS_6detail16IndexBoundsCheckILm4EiEESD_Lm4ESE_iEENS8_INS9_ISB_SC_Lm3ESE_iEESI_SC_Lm4ESE_iEESJ_NS8_INS9_ISB_SD_Lm0ESE_iEENSH_ILm1EiEESD_Lm1ESE_iEEbT0_iiiiiiiiiiiiii
                                        ; -- End function
	.set _ZN2at6native12_GLOBAL__N_139conv_depthwise2d_forward_kernel_genericIN3c108BFloat16EiEEvN5torch10headeronly6detail27GenericPackedTensorAccessorINS7_14TensorAccessorINS3_8ArrayRefIlEEKT_Lm3ENS6_16DefaultPtrTraitsEiEENS_6detail16IndexBoundsCheckILm4EiEESD_Lm4ESE_iEENS8_INS9_ISB_SC_Lm3ESE_iEESI_SC_Lm4ESE_iEESJ_NS8_INS9_ISB_SD_Lm0ESE_iEENSH_ILm1EiEESD_Lm1ESE_iEEbT0_iiiiiiiiiiiiii.num_vgpr, 24
	.set _ZN2at6native12_GLOBAL__N_139conv_depthwise2d_forward_kernel_genericIN3c108BFloat16EiEEvN5torch10headeronly6detail27GenericPackedTensorAccessorINS7_14TensorAccessorINS3_8ArrayRefIlEEKT_Lm3ENS6_16DefaultPtrTraitsEiEENS_6detail16IndexBoundsCheckILm4EiEESD_Lm4ESE_iEENS8_INS9_ISB_SC_Lm3ESE_iEESI_SC_Lm4ESE_iEESJ_NS8_INS9_ISB_SD_Lm0ESE_iEENSH_ILm1EiEESD_Lm1ESE_iEEbT0_iiiiiiiiiiiiii.num_agpr, 0
	.set _ZN2at6native12_GLOBAL__N_139conv_depthwise2d_forward_kernel_genericIN3c108BFloat16EiEEvN5torch10headeronly6detail27GenericPackedTensorAccessorINS7_14TensorAccessorINS3_8ArrayRefIlEEKT_Lm3ENS6_16DefaultPtrTraitsEiEENS_6detail16IndexBoundsCheckILm4EiEESD_Lm4ESE_iEENS8_INS9_ISB_SC_Lm3ESE_iEESI_SC_Lm4ESE_iEESJ_NS8_INS9_ISB_SD_Lm0ESE_iEENSH_ILm1EiEESD_Lm1ESE_iEEbT0_iiiiiiiiiiiiii.numbered_sgpr, 61
	.set _ZN2at6native12_GLOBAL__N_139conv_depthwise2d_forward_kernel_genericIN3c108BFloat16EiEEvN5torch10headeronly6detail27GenericPackedTensorAccessorINS7_14TensorAccessorINS3_8ArrayRefIlEEKT_Lm3ENS6_16DefaultPtrTraitsEiEENS_6detail16IndexBoundsCheckILm4EiEESD_Lm4ESE_iEENS8_INS9_ISB_SC_Lm3ESE_iEESI_SC_Lm4ESE_iEESJ_NS8_INS9_ISB_SD_Lm0ESE_iEENSH_ILm1EiEESD_Lm1ESE_iEEbT0_iiiiiiiiiiiiii.num_named_barrier, 0
	.set _ZN2at6native12_GLOBAL__N_139conv_depthwise2d_forward_kernel_genericIN3c108BFloat16EiEEvN5torch10headeronly6detail27GenericPackedTensorAccessorINS7_14TensorAccessorINS3_8ArrayRefIlEEKT_Lm3ENS6_16DefaultPtrTraitsEiEENS_6detail16IndexBoundsCheckILm4EiEESD_Lm4ESE_iEENS8_INS9_ISB_SC_Lm3ESE_iEESI_SC_Lm4ESE_iEESJ_NS8_INS9_ISB_SD_Lm0ESE_iEENSH_ILm1EiEESD_Lm1ESE_iEEbT0_iiiiiiiiiiiiii.private_seg_size, 0
	.set _ZN2at6native12_GLOBAL__N_139conv_depthwise2d_forward_kernel_genericIN3c108BFloat16EiEEvN5torch10headeronly6detail27GenericPackedTensorAccessorINS7_14TensorAccessorINS3_8ArrayRefIlEEKT_Lm3ENS6_16DefaultPtrTraitsEiEENS_6detail16IndexBoundsCheckILm4EiEESD_Lm4ESE_iEENS8_INS9_ISB_SC_Lm3ESE_iEESI_SC_Lm4ESE_iEESJ_NS8_INS9_ISB_SD_Lm0ESE_iEENSH_ILm1EiEESD_Lm1ESE_iEEbT0_iiiiiiiiiiiiii.uses_vcc, 1
	.set _ZN2at6native12_GLOBAL__N_139conv_depthwise2d_forward_kernel_genericIN3c108BFloat16EiEEvN5torch10headeronly6detail27GenericPackedTensorAccessorINS7_14TensorAccessorINS3_8ArrayRefIlEEKT_Lm3ENS6_16DefaultPtrTraitsEiEENS_6detail16IndexBoundsCheckILm4EiEESD_Lm4ESE_iEENS8_INS9_ISB_SC_Lm3ESE_iEESI_SC_Lm4ESE_iEESJ_NS8_INS9_ISB_SD_Lm0ESE_iEENSH_ILm1EiEESD_Lm1ESE_iEEbT0_iiiiiiiiiiiiii.uses_flat_scratch, 0
	.set _ZN2at6native12_GLOBAL__N_139conv_depthwise2d_forward_kernel_genericIN3c108BFloat16EiEEvN5torch10headeronly6detail27GenericPackedTensorAccessorINS7_14TensorAccessorINS3_8ArrayRefIlEEKT_Lm3ENS6_16DefaultPtrTraitsEiEENS_6detail16IndexBoundsCheckILm4EiEESD_Lm4ESE_iEENS8_INS9_ISB_SC_Lm3ESE_iEESI_SC_Lm4ESE_iEESJ_NS8_INS9_ISB_SD_Lm0ESE_iEENSH_ILm1EiEESD_Lm1ESE_iEEbT0_iiiiiiiiiiiiii.has_dyn_sized_stack, 0
	.set _ZN2at6native12_GLOBAL__N_139conv_depthwise2d_forward_kernel_genericIN3c108BFloat16EiEEvN5torch10headeronly6detail27GenericPackedTensorAccessorINS7_14TensorAccessorINS3_8ArrayRefIlEEKT_Lm3ENS6_16DefaultPtrTraitsEiEENS_6detail16IndexBoundsCheckILm4EiEESD_Lm4ESE_iEENS8_INS9_ISB_SC_Lm3ESE_iEESI_SC_Lm4ESE_iEESJ_NS8_INS9_ISB_SD_Lm0ESE_iEENSH_ILm1EiEESD_Lm1ESE_iEEbT0_iiiiiiiiiiiiii.has_recursion, 0
	.set _ZN2at6native12_GLOBAL__N_139conv_depthwise2d_forward_kernel_genericIN3c108BFloat16EiEEvN5torch10headeronly6detail27GenericPackedTensorAccessorINS7_14TensorAccessorINS3_8ArrayRefIlEEKT_Lm3ENS6_16DefaultPtrTraitsEiEENS_6detail16IndexBoundsCheckILm4EiEESD_Lm4ESE_iEENS8_INS9_ISB_SC_Lm3ESE_iEESI_SC_Lm4ESE_iEESJ_NS8_INS9_ISB_SD_Lm0ESE_iEENSH_ILm1EiEESD_Lm1ESE_iEEbT0_iiiiiiiiiiiiii.has_indirect_call, 0
	.section	.AMDGPU.csdata,"",@progbits
; Kernel info:
; codeLenInByte = 1940
; TotalNumSgprs: 65
; NumVgprs: 24
; ScratchSize: 0
; MemoryBound: 0
; FloatMode: 240
; IeeeMode: 1
; LDSByteSize: 0 bytes/workgroup (compile time only)
; SGPRBlocks: 8
; VGPRBlocks: 5
; NumSGPRsForWavesPerEU: 65
; NumVGPRsForWavesPerEU: 24
; Occupancy: 10
; WaveLimiterHint : 0
; COMPUTE_PGM_RSRC2:SCRATCH_EN: 0
; COMPUTE_PGM_RSRC2:USER_SGPR: 6
; COMPUTE_PGM_RSRC2:TRAP_HANDLER: 0
; COMPUTE_PGM_RSRC2:TGID_X_EN: 1
; COMPUTE_PGM_RSRC2:TGID_Y_EN: 0
; COMPUTE_PGM_RSRC2:TGID_Z_EN: 0
; COMPUTE_PGM_RSRC2:TIDIG_COMP_CNT: 0
	.section	.text._ZN2at6native12_GLOBAL__N_132conv_depthwise2d_backward_kernelILi5ELi1EdiEEvN5torch10headeronly6detail27GenericPackedTensorAccessorINS5_14TensorAccessorIN3c108ArrayRefIlEEKT1_Lm3ENS4_16DefaultPtrTraitsEiEENS_6detail16IndexBoundsCheckILm4EiEESC_Lm4ESD_iEENS6_INS7_ISA_SB_Lm3ESD_iEESH_SB_Lm4ESD_iEESI_T2_iiiiiiiiiiiiiii,"axG",@progbits,_ZN2at6native12_GLOBAL__N_132conv_depthwise2d_backward_kernelILi5ELi1EdiEEvN5torch10headeronly6detail27GenericPackedTensorAccessorINS5_14TensorAccessorIN3c108ArrayRefIlEEKT1_Lm3ENS4_16DefaultPtrTraitsEiEENS_6detail16IndexBoundsCheckILm4EiEESC_Lm4ESD_iEENS6_INS7_ISA_SB_Lm3ESD_iEESH_SB_Lm4ESD_iEESI_T2_iiiiiiiiiiiiiii,comdat
	.globl	_ZN2at6native12_GLOBAL__N_132conv_depthwise2d_backward_kernelILi5ELi1EdiEEvN5torch10headeronly6detail27GenericPackedTensorAccessorINS5_14TensorAccessorIN3c108ArrayRefIlEEKT1_Lm3ENS4_16DefaultPtrTraitsEiEENS_6detail16IndexBoundsCheckILm4EiEESC_Lm4ESD_iEENS6_INS7_ISA_SB_Lm3ESD_iEESH_SB_Lm4ESD_iEESI_T2_iiiiiiiiiiiiiii ; -- Begin function _ZN2at6native12_GLOBAL__N_132conv_depthwise2d_backward_kernelILi5ELi1EdiEEvN5torch10headeronly6detail27GenericPackedTensorAccessorINS5_14TensorAccessorIN3c108ArrayRefIlEEKT1_Lm3ENS4_16DefaultPtrTraitsEiEENS_6detail16IndexBoundsCheckILm4EiEESC_Lm4ESD_iEENS6_INS7_ISA_SB_Lm3ESD_iEESH_SB_Lm4ESD_iEESI_T2_iiiiiiiiiiiiiii
	.p2align	8
	.type	_ZN2at6native12_GLOBAL__N_132conv_depthwise2d_backward_kernelILi5ELi1EdiEEvN5torch10headeronly6detail27GenericPackedTensorAccessorINS5_14TensorAccessorIN3c108ArrayRefIlEEKT1_Lm3ENS4_16DefaultPtrTraitsEiEENS_6detail16IndexBoundsCheckILm4EiEESC_Lm4ESD_iEENS6_INS7_ISA_SB_Lm3ESD_iEESH_SB_Lm4ESD_iEESI_T2_iiiiiiiiiiiiiii,@function
_ZN2at6native12_GLOBAL__N_132conv_depthwise2d_backward_kernelILi5ELi1EdiEEvN5torch10headeronly6detail27GenericPackedTensorAccessorINS5_14TensorAccessorIN3c108ArrayRefIlEEKT1_Lm3ENS4_16DefaultPtrTraitsEiEENS_6detail16IndexBoundsCheckILm4EiEESC_Lm4ESD_iEENS6_INS7_ISA_SB_Lm3ESD_iEESH_SB_Lm4ESD_iEESI_T2_iiiiiiiiiiiiiii: ; @_ZN2at6native12_GLOBAL__N_132conv_depthwise2d_backward_kernelILi5ELi1EdiEEvN5torch10headeronly6detail27GenericPackedTensorAccessorINS5_14TensorAccessorIN3c108ArrayRefIlEEKT1_Lm3ENS4_16DefaultPtrTraitsEiEENS_6detail16IndexBoundsCheckILm4EiEESC_Lm4ESD_iEENS6_INS7_ISA_SB_Lm3ESD_iEESH_SB_Lm4ESD_iEESI_T2_iiiiiiiiiiiiiii
; %bb.0:
	s_load_dword s2, s[4:5], 0xc4
	s_load_dwordx8 s[20:27], s[4:5], 0x78
	s_add_u32 s0, s4, 0xb8
	s_addc_u32 s1, s5, 0
	v_mov_b32_e32 v1, 0
	s_waitcnt lgkmcnt(0)
	s_and_b32 s2, s2, 0xffff
	v_mov_b32_e32 v2, s6
	v_mad_u64_u32 v[1:2], s[8:9], s2, v2, v[0:1]
	s_ashr_i32 s19, s20, 31
	s_mov_b32 s18, s20
	v_cmp_gt_i64_e32 vcc, s[18:19], v[1:2]
	s_and_saveexec_b64 s[8:9], vcc
	s_cbranch_execz .LBB16_57
; %bb.1:
	s_cmp_gt_i32 s22, 0
	s_cselect_b64 s[8:9], -1, 0
	s_abs_i32 s20, s24
	v_cvt_f32_u32_e32 v3, s20
	s_abs_i32 s33, s25
	v_cvt_f32_u32_e32 v4, s33
	;; [unrolled: 2-line block ×3, first 2 shown]
	v_rcp_iflag_f32_e32 v3, v3
	v_rcp_iflag_f32_e32 v4, v4
	s_load_dwordx2 s[10:11], s[4:5], 0x98
	s_load_dwordx2 s[34:35], s[4:5], 0x0
	;; [unrolled: 1-line block ×4, first 2 shown]
	s_load_dword s3, s[0:1], 0x0
	v_rcp_iflag_f32_e32 v5, v5
	v_mul_f32_e32 v3, 0x4f7ffffe, v3
	v_cvt_u32_f32_e32 v3, v3
	v_mul_f32_e32 v4, 0x4f7ffffe, v4
	v_cvt_u32_f32_e32 v4, v4
	;; [unrolled: 2-line block ×3, first 2 shown]
	s_sub_i32 s0, 0, s20
	v_mul_lo_u32 v6, s0, v3
	s_sub_i32 s0, 0, s33
	s_load_dwordx4 s[28:31], s[4:5], 0xa8
	v_mul_lo_u32 v7, s0, v4
	s_sub_i32 s0, 0, s78
	v_mul_lo_u32 v8, s0, v5
	s_ashr_i32 s0, s24, 31
                                        ; implicit-def: $vgpr45 : SGPR spill to VGPR lane
	v_mul_hi_u32 v6, v3, v6
	v_writelane_b32 v45, s0, 0
	s_ashr_i32 s0, s25, 31
	v_writelane_b32 v45, s0, 1
	s_ashr_i32 s0, s21, 31
	v_writelane_b32 v45, s0, 2
	s_mul_i32 s0, s6, s2
	s_waitcnt lgkmcnt(0)
	s_add_i32 s0, s0, s28
	v_add_u32_e32 v0, s0, v0
	s_lshl_b32 s0, s30, 2
	v_mul_hi_u32 v9, v4, v7
	v_add_u32_e32 v7, v3, v6
	v_mul_hi_u32 v3, v5, v8
	v_subrev_u32_e32 v10, s0, v0
	s_lshl_b32 s0, s31, 2
	s_sub_i32 s86, s29, s0
	s_mul_i32 s0, s30, 3
	v_subrev_u32_e32 v11, s0, v0
	s_lshl_b32 s0, s30, 1
	v_subrev_u32_e32 v12, s0, v0
	s_mul_i32 s0, s31, 3
	v_add_u32_e32 v8, v4, v9
	v_add_u32_e32 v9, v5, v3
	s_sub_i32 s88, s29, s0
	s_lshl_b32 s0, s31, 1
	v_cndmask_b32_e64 v3, 0, 1, s[8:9]
	s_mul_i32 s79, s3, s2
	s_mul_i32 s83, s11, s10
	s_sub_i32 s82, 0, s24
	s_mul_i32 s87, s27, s26
	v_subrev_u32_e32 v13, s30, v0
	s_sub_i32 s89, s29, s0
	s_sub_i32 s90, s29, s31
	s_mov_b64 s[40:41], 0
	v_cmp_ne_u32_e64 s[0:1], 1, v3
	s_branch .LBB16_4
.LBB16_2:                               ;   in Loop: Header=BB16_4 Depth=1
	v_mov_b32_e32 v3, 0
	v_mov_b32_e32 v4, 0
.LBB16_3:                               ;   in Loop: Header=BB16_4 Depth=1
	v_lshlrev_b64 v[5:6], 3, v[1:2]
	v_mov_b32_e32 v14, s37
	v_add_co_u32_e32 v5, vcc, s36, v5
	v_addc_co_u32_e32 v6, vcc, v14, v6, vcc
	v_add_co_u32_e32 v1, vcc, s79, v1
	v_addc_co_u32_e32 v2, vcc, 0, v2, vcc
	v_cmp_le_i64_e32 vcc, s[18:19], v[1:2]
	v_add_u32_e32 v10, s79, v10
	v_add_u32_e32 v11, s79, v11
	v_add_u32_e32 v12, s79, v12
	v_add_u32_e32 v13, s79, v13
	s_or_b64 s[40:41], vcc, s[40:41]
	v_add_u32_e32 v0, s79, v0
	global_store_dwordx2 v[5:6], v[3:4], off
	s_andn2_b64 exec, exec, s[40:41]
	s_cbranch_execz .LBB16_57
.LBB16_4:                               ; =>This Loop Header: Depth=1
                                        ;     Child Loop BB16_7 Depth 2
	s_and_b64 vcc, exec, s[0:1]
	s_cbranch_vccnz .LBB16_2
; %bb.5:                                ;   in Loop: Header=BB16_4 Depth=1
	v_sub_u32_e32 v3, 0, v1
	v_max_i32_e32 v4, v1, v3
	v_mul_hi_u32 v5, v4, v7
	v_ashrrev_i32_e32 v3, 31, v1
	v_readlane_b32 s2, v45, 0
	v_xor_b32_e32 v3, s2, v3
	v_mul_lo_u32 v6, v5, s20
	v_add_u32_e32 v14, 1, v5
	v_readlane_b32 s2, v45, 1
	v_add_u32_e32 v18, s28, v1
	v_sub_u32_e32 v4, v4, v6
	v_cmp_le_u32_e32 vcc, s20, v4
	v_subrev_u32_e32 v6, s20, v4
	v_cndmask_b32_e32 v5, v5, v14, vcc
	v_cndmask_b32_e32 v4, v4, v6, vcc
	v_add_u32_e32 v6, 1, v5
	v_cmp_le_u32_e32 vcc, s20, v4
	v_cndmask_b32_e32 v4, v5, v6, vcc
	v_xor_b32_e32 v5, v4, v3
	v_sub_u32_e32 v4, v5, v3
	v_sub_u32_e32 v6, 0, v4
	v_max_i32_e32 v6, v4, v6
	v_mul_hi_u32 v14, v6, v8
	v_ashrrev_i32_e32 v16, 31, v4
	v_xor_b32_e32 v16, s2, v16
	v_mul_lo_u32 v31, s82, v4
	v_mul_lo_u32 v15, v14, s33
	v_add_u32_e32 v17, 1, v14
	s_mov_b32 s91, s22
	v_sub_u32_e32 v6, v6, v15
	v_cmp_le_u32_e32 vcc, s33, v6
	v_subrev_u32_e32 v15, s33, v6
	v_cndmask_b32_e32 v14, v14, v17, vcc
	v_cndmask_b32_e32 v6, v6, v15, vcc
	v_add_u32_e32 v15, 1, v14
	v_cmp_le_u32_e32 vcc, s33, v6
	v_cndmask_b32_e32 v6, v14, v15, vcc
	v_xor_b32_e32 v6, v6, v16
	v_sub_u32_e32 v14, v6, v16
	v_sub_u32_e32 v6, 0, v14
	v_max_i32_e32 v6, v14, v6
	v_mul_hi_u32 v15, v6, v9
	v_mul_lo_u32 v16, v15, s78
	v_add_u32_e32 v17, 1, v15
	v_sub_u32_e32 v6, v6, v16
	v_cmp_le_u32_e32 vcc, s78, v6
	v_subrev_u32_e32 v16, s78, v6
	v_cndmask_b32_e32 v15, v15, v17, vcc
	v_cndmask_b32_e32 v6, v6, v16, vcc
	v_add_u32_e32 v16, 1, v15
	v_cmp_le_u32_e32 vcc, s78, v6
	v_cndmask_b32_e32 v15, v15, v16, vcc
	v_mul_lo_u32 v16, v4, s24
	v_mul_lo_u32 v6, v14, s25
	v_add_u32_e32 v17, s29, v4
	v_sub_u32_e32 v19, v18, v16
	v_add_u32_e32 v16, s30, v16
	v_cmp_lt_i32_e32 vcc, -1, v19
	v_cmp_gt_i32_e64 s[2:3], s26, v19
	v_sub_u32_e32 v19, v18, v16
	v_add_u32_e32 v16, s30, v16
	v_cmp_lt_i32_e64 s[4:5], -1, v19
	v_cmp_gt_i32_e64 s[6:7], s26, v19
	v_sub_u32_e32 v19, v18, v16
	v_add_u32_e32 v16, s30, v16
	v_cmp_lt_i32_e64 s[8:9], -1, v19
	v_cmp_gt_i32_e64 s[10:11], s26, v19
	v_sub_u32_e32 v19, v18, v16
	v_add_u32_e32 v16, s30, v16
	v_sub_u32_e32 v16, v18, v16
	s_and_b64 s[42:43], vcc, s[2:3]
	v_cmp_lt_i32_e32 vcc, -1, v16
	v_cmp_gt_i32_e64 s[2:3], s26, v16
	v_add_u32_e32 v16, s31, v6
	v_cmp_lt_i32_e64 s[12:13], -1, v19
	v_cmp_gt_i32_e64 s[14:15], s26, v19
	v_sub_u32_e32 v18, v17, v16
	v_add_u32_e32 v16, s31, v16
	s_and_b64 s[4:5], s[4:5], s[6:7]
	s_and_b64 s[8:9], s[8:9], s[10:11]
	;; [unrolled: 1-line block ×3, first 2 shown]
	s_and_b64 s[2:3], vcc, s[2:3]
	v_cmp_gt_i32_e32 vcc, s27, v18
	v_sub_u32_e32 v20, v17, v16
	v_add_u32_e32 v16, s31, v16
	s_and_b64 s[46:47], vcc, s[42:43]
	s_and_b64 s[48:49], vcc, s[4:5]
	s_and_b64 s[50:51], vcc, s[8:9]
	s_and_b64 s[52:53], vcc, s[12:13]
	s_and_b64 s[54:55], vcc, s[2:3]
	v_cmp_gt_i32_e32 vcc, s27, v20
	v_sub_u32_e32 v21, v17, v16
	v_add_u32_e32 v16, s31, v16
	v_sub_u32_e32 v19, v17, v6
	s_and_b64 s[56:57], vcc, s[42:43]
	s_and_b64 s[58:59], vcc, s[4:5]
	;; [unrolled: 1-line block ×5, first 2 shown]
	v_cmp_gt_i32_e32 vcc, s27, v21
	v_sub_u32_e32 v16, v17, v16
	v_cmp_gt_i32_e64 s[16:17], s27, v19
	s_and_b64 s[66:67], vcc, s[42:43]
	s_and_b64 s[68:69], vcc, s[4:5]
	;; [unrolled: 1-line block ×5, first 2 shown]
	v_cmp_gt_i32_e32 vcc, s27, v16
	s_and_b64 s[14:15], s[16:17], s[12:13]
	s_and_b64 s[80:81], vcc, s[12:13]
	s_xor_b64 s[12:13], s[46:47], -1
	s_xor_b64 s[46:47], s[56:57], -1
	;; [unrolled: 1-line block ×3, first 2 shown]
	v_ashrrev_i32_e32 v17, 31, v14
	v_readlane_b32 s66, v45, 2
	v_xor_b32_e32 v17, s66, v17
	v_xor_b32_e32 v15, v15, v17
	v_sub_u32_e32 v15, v15, v17
	v_mul_lo_u32 v17, v15, s21
	v_mul_lo_u32 v15, v15, s23
	s_and_b64 s[10:11], s[16:17], s[8:9]
	s_and_b64 s[94:95], vcc, s[8:9]
	v_sub_u32_e32 v39, v14, v17
	s_xor_b64 s[8:9], s[14:15], -1
	s_xor_b64 s[14:15], s[48:49], -1
	;; [unrolled: 1-line block ×4, first 2 shown]
	v_mad_u64_u32 v[14:15], s[68:69], v39, s22, v[15:16]
	s_and_b64 s[76:77], vcc, s[42:43]
	s_and_b64 s[92:93], vcc, s[4:5]
	v_mul_lo_u32 v27, s27, v14
	s_and_b64 s[84:85], vcc, s[2:3]
	v_cmp_gt_i32_e32 vcc, 0, v19
	s_and_b64 s[44:45], s[16:17], s[42:43]
	v_add3_u32 v14, s86, v5, v27
	v_add3_u32 v15, s88, v5, v27
	;; [unrolled: 1-line block ×5, first 2 shown]
	v_sub_u32_e32 v14, v14, v6
	v_sub_u32_e32 v15, v15, v6
	;; [unrolled: 1-line block ×5, first 2 shown]
	s_and_b64 s[6:7], s[16:17], s[4:5]
	s_and_b64 s[16:17], s[16:17], s[2:3]
	v_sub_u32_e32 v14, v14, v3
	v_sub_u32_e32 v15, v15, v3
	;; [unrolled: 1-line block ×5, first 2 shown]
	s_xor_b64 s[2:3], s[44:45], -1
	s_xor_b64 s[4:5], s[6:7], -1
	s_xor_b64 s[6:7], s[10:11], -1
	s_xor_b64 s[10:11], s[16:17], -1
	v_mul_lo_u32 v3, s26, v3
	s_nor_b64 s[2:3], vcc, s[2:3]
	s_nor_b64 s[4:5], vcc, s[4:5]
	;; [unrolled: 1-line block ×5, first 2 shown]
	v_cmp_gt_i32_e32 vcc, 0, v18
	s_xor_b64 s[16:17], s[50:51], -1
	s_xor_b64 s[42:43], s[52:53], -1
	;; [unrolled: 1-line block ×4, first 2 shown]
	v_mul_lo_u32 v32, s26, v14
	v_mul_lo_u32 v33, s26, v15
	;; [unrolled: 1-line block ×4, first 2 shown]
	s_mul_i32 s76, s83, s22
	s_nor_b64 s[12:13], vcc, s[12:13]
	s_nor_b64 s[14:15], vcc, s[14:15]
	;; [unrolled: 1-line block ×5, first 2 shown]
	v_cmp_gt_i32_e32 vcc, 0, v20
	s_xor_b64 s[50:51], s[60:61], -1
	s_xor_b64 s[52:53], s[62:63], -1
	;; [unrolled: 1-line block ×3, first 2 shown]
	v_mul_lo_u32 v5, s76, v39
	s_nor_b64 s[46:47], vcc, s[46:47]
	s_nor_b64 s[48:49], vcc, s[48:49]
	;; [unrolled: 1-line block ×5, first 2 shown]
	v_cmp_gt_i32_e32 vcc, 0, v21
	s_xor_b64 s[60:61], s[70:71], -1
	s_xor_b64 s[62:63], s[72:73], -1
	;; [unrolled: 1-line block ×3, first 2 shown]
	s_nor_b64 s[56:57], vcc, s[56:57]
	s_nor_b64 s[58:59], vcc, s[58:59]
	;; [unrolled: 1-line block ×5, first 2 shown]
	v_cmp_gt_i32_e32 vcc, 0, v16
	s_xor_b64 s[68:69], s[92:93], -1
	s_xor_b64 s[70:71], s[94:95], -1
	s_xor_b64 s[72:73], s[80:81], -1
	s_xor_b64 s[74:75], s[84:85], -1
	v_add_u32_e32 v30, v10, v3
	v_add_u32_e32 v36, v11, v3
	;; [unrolled: 1-line block ×5, first 2 shown]
	v_mov_b32_e32 v3, 0
	s_nor_b64 s[66:67], vcc, s[66:67]
	s_nor_b64 s[68:69], vcc, s[68:69]
	;; [unrolled: 1-line block ×5, first 2 shown]
	v_add_u32_e32 v14, v10, v32
	v_add_u32_e32 v15, v11, v32
	;; [unrolled: 1-line block ×20, first 2 shown]
	v_mov_b32_e32 v4, 0
	s_branch .LBB16_7
.LBB16_6:                               ;   in Loop: Header=BB16_7 Depth=2
	s_or_b64 exec, exec, s[76:77]
	s_add_i32 s91, s91, -1
	v_add_u32_e32 v5, s83, v5
	v_add_u32_e32 v14, s87, v14
	;; [unrolled: 1-line block ×25, first 2 shown]
	s_cmp_eq_u32 s91, 0
	v_add_u32_e32 v39, s87, v39
	s_cbranch_scc1 .LBB16_3
.LBB16_7:                               ;   Parent Loop BB16_4 Depth=1
                                        ; =>  This Inner Loop Header: Depth=2
	v_ashrrev_i32_e32 v6, 31, v5
	s_and_saveexec_b64 s[76:77], s[2:3]
	s_cbranch_execnz .LBB16_32
; %bb.8:                                ;   in Loop: Header=BB16_7 Depth=2
	s_or_b64 exec, exec, s[76:77]
	s_and_saveexec_b64 s[76:77], s[4:5]
	s_cbranch_execnz .LBB16_33
.LBB16_9:                               ;   in Loop: Header=BB16_7 Depth=2
	s_or_b64 exec, exec, s[76:77]
	s_and_saveexec_b64 s[76:77], s[6:7]
	s_cbranch_execnz .LBB16_34
.LBB16_10:                              ;   in Loop: Header=BB16_7 Depth=2
	s_or_b64 exec, exec, s[76:77]
	s_and_saveexec_b64 s[76:77], s[8:9]
	s_cbranch_execnz .LBB16_35
.LBB16_11:                              ;   in Loop: Header=BB16_7 Depth=2
	s_or_b64 exec, exec, s[76:77]
	s_and_saveexec_b64 s[76:77], s[10:11]
	s_cbranch_execnz .LBB16_36
.LBB16_12:                              ;   in Loop: Header=BB16_7 Depth=2
	s_or_b64 exec, exec, s[76:77]
	s_and_saveexec_b64 s[76:77], s[12:13]
	s_cbranch_execnz .LBB16_37
.LBB16_13:                              ;   in Loop: Header=BB16_7 Depth=2
	s_or_b64 exec, exec, s[76:77]
	s_and_saveexec_b64 s[76:77], s[14:15]
	s_cbranch_execnz .LBB16_38
.LBB16_14:                              ;   in Loop: Header=BB16_7 Depth=2
	s_or_b64 exec, exec, s[76:77]
	s_and_saveexec_b64 s[76:77], s[16:17]
	s_cbranch_execnz .LBB16_39
.LBB16_15:                              ;   in Loop: Header=BB16_7 Depth=2
	s_or_b64 exec, exec, s[76:77]
	s_and_saveexec_b64 s[76:77], s[42:43]
	s_cbranch_execnz .LBB16_40
.LBB16_16:                              ;   in Loop: Header=BB16_7 Depth=2
	s_or_b64 exec, exec, s[76:77]
	s_and_saveexec_b64 s[76:77], s[44:45]
	s_cbranch_execnz .LBB16_41
.LBB16_17:                              ;   in Loop: Header=BB16_7 Depth=2
	s_or_b64 exec, exec, s[76:77]
	s_and_saveexec_b64 s[76:77], s[46:47]
	s_cbranch_execnz .LBB16_42
.LBB16_18:                              ;   in Loop: Header=BB16_7 Depth=2
	s_or_b64 exec, exec, s[76:77]
	s_and_saveexec_b64 s[76:77], s[48:49]
	s_cbranch_execnz .LBB16_43
.LBB16_19:                              ;   in Loop: Header=BB16_7 Depth=2
	s_or_b64 exec, exec, s[76:77]
	s_and_saveexec_b64 s[76:77], s[50:51]
	s_cbranch_execnz .LBB16_44
.LBB16_20:                              ;   in Loop: Header=BB16_7 Depth=2
	s_or_b64 exec, exec, s[76:77]
	s_and_saveexec_b64 s[76:77], s[52:53]
	s_cbranch_execnz .LBB16_45
.LBB16_21:                              ;   in Loop: Header=BB16_7 Depth=2
	s_or_b64 exec, exec, s[76:77]
	s_and_saveexec_b64 s[76:77], s[54:55]
	s_cbranch_execnz .LBB16_46
.LBB16_22:                              ;   in Loop: Header=BB16_7 Depth=2
	s_or_b64 exec, exec, s[76:77]
	s_and_saveexec_b64 s[76:77], s[56:57]
	s_cbranch_execnz .LBB16_47
.LBB16_23:                              ;   in Loop: Header=BB16_7 Depth=2
	s_or_b64 exec, exec, s[76:77]
	s_and_saveexec_b64 s[76:77], s[58:59]
	s_cbranch_execnz .LBB16_48
.LBB16_24:                              ;   in Loop: Header=BB16_7 Depth=2
	s_or_b64 exec, exec, s[76:77]
	s_and_saveexec_b64 s[76:77], s[60:61]
	s_cbranch_execnz .LBB16_49
.LBB16_25:                              ;   in Loop: Header=BB16_7 Depth=2
	s_or_b64 exec, exec, s[76:77]
	s_and_saveexec_b64 s[76:77], s[62:63]
	s_cbranch_execnz .LBB16_50
.LBB16_26:                              ;   in Loop: Header=BB16_7 Depth=2
	s_or_b64 exec, exec, s[76:77]
	s_and_saveexec_b64 s[76:77], s[64:65]
	s_cbranch_execnz .LBB16_51
.LBB16_27:                              ;   in Loop: Header=BB16_7 Depth=2
	s_or_b64 exec, exec, s[76:77]
	s_and_saveexec_b64 s[76:77], s[66:67]
	s_cbranch_execnz .LBB16_52
.LBB16_28:                              ;   in Loop: Header=BB16_7 Depth=2
	s_or_b64 exec, exec, s[76:77]
	s_and_saveexec_b64 s[76:77], s[68:69]
	s_cbranch_execnz .LBB16_53
.LBB16_29:                              ;   in Loop: Header=BB16_7 Depth=2
	s_or_b64 exec, exec, s[76:77]
	s_and_saveexec_b64 s[76:77], s[70:71]
	s_cbranch_execnz .LBB16_54
.LBB16_30:                              ;   in Loop: Header=BB16_7 Depth=2
	s_or_b64 exec, exec, s[76:77]
	s_and_saveexec_b64 s[76:77], s[72:73]
	s_cbranch_execnz .LBB16_55
.LBB16_31:                              ;   in Loop: Header=BB16_7 Depth=2
	s_or_b64 exec, exec, s[76:77]
	s_and_saveexec_b64 s[76:77], s[74:75]
	s_cbranch_execz .LBB16_6
	s_branch .LBB16_56
.LBB16_32:                              ;   in Loop: Header=BB16_7 Depth=2
	v_lshlrev_b64 v[41:42], 3, v[5:6]
	v_mov_b32_e32 v43, s39
	v_add_co_u32_e32 v41, vcc, s38, v41
	v_add_u32_e32 v40, v31, v39
	v_addc_co_u32_e32 v42, vcc, v43, v42, vcc
	global_load_dwordx2 v[42:43], v[41:42], off
	v_ashrrev_i32_e32 v41, 31, v40
	v_lshlrev_b64 v[40:41], 3, v[40:41]
	v_mov_b32_e32 v44, s35
	v_add_co_u32_e32 v40, vcc, s34, v40
	v_addc_co_u32_e32 v41, vcc, v44, v41, vcc
	global_load_dwordx2 v[40:41], v[40:41], off
	s_waitcnt vmcnt(0)
	v_fma_f64 v[3:4], v[42:43], v[40:41], v[3:4]
	s_or_b64 exec, exec, s[76:77]
	s_and_saveexec_b64 s[76:77], s[4:5]
	s_cbranch_execz .LBB16_9
.LBB16_33:                              ;   in Loop: Header=BB16_7 Depth=2
	v_lshlrev_b64 v[41:42], 3, v[5:6]
	v_mov_b32_e32 v43, s39
	v_add_co_u32_e32 v41, vcc, s38, v41
	v_add_u32_e32 v40, v31, v38
	v_addc_co_u32_e32 v42, vcc, v43, v42, vcc
	global_load_dwordx2 v[42:43], v[41:42], off offset:8
	v_ashrrev_i32_e32 v41, 31, v40
	v_lshlrev_b64 v[40:41], 3, v[40:41]
	v_mov_b32_e32 v44, s35
	v_add_co_u32_e32 v40, vcc, s34, v40
	v_addc_co_u32_e32 v41, vcc, v44, v41, vcc
	global_load_dwordx2 v[40:41], v[40:41], off
	s_waitcnt vmcnt(0)
	v_fma_f64 v[3:4], v[42:43], v[40:41], v[3:4]
	s_or_b64 exec, exec, s[76:77]
	s_and_saveexec_b64 s[76:77], s[6:7]
	s_cbranch_execz .LBB16_10
.LBB16_34:                              ;   in Loop: Header=BB16_7 Depth=2
	v_lshlrev_b64 v[41:42], 3, v[5:6]
	v_mov_b32_e32 v43, s39
	v_add_co_u32_e32 v41, vcc, s38, v41
	v_add_u32_e32 v40, v31, v37
	v_addc_co_u32_e32 v42, vcc, v43, v42, vcc
	global_load_dwordx2 v[42:43], v[41:42], off offset:16
	v_ashrrev_i32_e32 v41, 31, v40
	v_lshlrev_b64 v[40:41], 3, v[40:41]
	v_mov_b32_e32 v44, s35
	v_add_co_u32_e32 v40, vcc, s34, v40
	v_addc_co_u32_e32 v41, vcc, v44, v41, vcc
	global_load_dwordx2 v[40:41], v[40:41], off
	s_waitcnt vmcnt(0)
	v_fma_f64 v[3:4], v[42:43], v[40:41], v[3:4]
	s_or_b64 exec, exec, s[76:77]
	s_and_saveexec_b64 s[76:77], s[8:9]
	s_cbranch_execz .LBB16_11
.LBB16_35:                              ;   in Loop: Header=BB16_7 Depth=2
	v_lshlrev_b64 v[41:42], 3, v[5:6]
	v_mov_b32_e32 v43, s39
	v_add_co_u32_e32 v41, vcc, s38, v41
	v_add_u32_e32 v40, v31, v36
	v_addc_co_u32_e32 v42, vcc, v43, v42, vcc
	global_load_dwordx2 v[42:43], v[41:42], off offset:24
	v_ashrrev_i32_e32 v41, 31, v40
	v_lshlrev_b64 v[40:41], 3, v[40:41]
	v_mov_b32_e32 v44, s35
	v_add_co_u32_e32 v40, vcc, s34, v40
	v_addc_co_u32_e32 v41, vcc, v44, v41, vcc
	global_load_dwordx2 v[40:41], v[40:41], off
	s_waitcnt vmcnt(0)
	v_fma_f64 v[3:4], v[42:43], v[40:41], v[3:4]
	s_or_b64 exec, exec, s[76:77]
	s_and_saveexec_b64 s[76:77], s[10:11]
	s_cbranch_execz .LBB16_12
.LBB16_36:                              ;   in Loop: Header=BB16_7 Depth=2
	v_lshlrev_b64 v[41:42], 3, v[5:6]
	v_mov_b32_e32 v43, s39
	v_add_co_u32_e32 v41, vcc, s38, v41
	v_add_u32_e32 v40, v31, v30
	v_addc_co_u32_e32 v42, vcc, v43, v42, vcc
	global_load_dwordx2 v[42:43], v[41:42], off offset:32
	v_ashrrev_i32_e32 v41, 31, v40
	v_lshlrev_b64 v[40:41], 3, v[40:41]
	v_mov_b32_e32 v44, s35
	v_add_co_u32_e32 v40, vcc, s34, v40
	v_addc_co_u32_e32 v41, vcc, v44, v41, vcc
	global_load_dwordx2 v[40:41], v[40:41], off
	s_waitcnt vmcnt(0)
	v_fma_f64 v[3:4], v[42:43], v[40:41], v[3:4]
	s_or_b64 exec, exec, s[76:77]
	s_and_saveexec_b64 s[76:77], s[12:13]
	s_cbranch_execz .LBB16_13
.LBB16_37:                              ;   in Loop: Header=BB16_7 Depth=2
	v_lshlrev_b64 v[41:42], 3, v[5:6]
	v_mov_b32_e32 v43, s39
	v_add_co_u32_e32 v41, vcc, s38, v41
	v_add_u32_e32 v40, v31, v35
	v_addc_co_u32_e32 v42, vcc, v43, v42, vcc
	global_load_dwordx2 v[42:43], v[41:42], off offset:40
	v_ashrrev_i32_e32 v41, 31, v40
	v_lshlrev_b64 v[40:41], 3, v[40:41]
	v_mov_b32_e32 v44, s35
	v_add_co_u32_e32 v40, vcc, s34, v40
	v_addc_co_u32_e32 v41, vcc, v44, v41, vcc
	global_load_dwordx2 v[40:41], v[40:41], off
	s_waitcnt vmcnt(0)
	v_fma_f64 v[3:4], v[42:43], v[40:41], v[3:4]
	s_or_b64 exec, exec, s[76:77]
	s_and_saveexec_b64 s[76:77], s[14:15]
	s_cbranch_execz .LBB16_14
.LBB16_38:                              ;   in Loop: Header=BB16_7 Depth=2
	v_lshlrev_b64 v[41:42], 3, v[5:6]
	v_mov_b32_e32 v43, s39
	v_add_co_u32_e32 v41, vcc, s38, v41
	v_add_u32_e32 v40, v31, v29
	v_addc_co_u32_e32 v42, vcc, v43, v42, vcc
	global_load_dwordx2 v[42:43], v[41:42], off offset:48
	v_ashrrev_i32_e32 v41, 31, v40
	v_lshlrev_b64 v[40:41], 3, v[40:41]
	v_mov_b32_e32 v44, s35
	v_add_co_u32_e32 v40, vcc, s34, v40
	v_addc_co_u32_e32 v41, vcc, v44, v41, vcc
	global_load_dwordx2 v[40:41], v[40:41], off
	s_waitcnt vmcnt(0)
	v_fma_f64 v[3:4], v[42:43], v[40:41], v[3:4]
	s_or_b64 exec, exec, s[76:77]
	s_and_saveexec_b64 s[76:77], s[16:17]
	s_cbranch_execz .LBB16_15
.LBB16_39:                              ;   in Loop: Header=BB16_7 Depth=2
	v_lshlrev_b64 v[41:42], 3, v[5:6]
	v_mov_b32_e32 v43, s39
	v_add_co_u32_e32 v41, vcc, s38, v41
	v_add_u32_e32 v40, v31, v28
	v_addc_co_u32_e32 v42, vcc, v43, v42, vcc
	global_load_dwordx2 v[42:43], v[41:42], off offset:56
	v_ashrrev_i32_e32 v41, 31, v40
	v_lshlrev_b64 v[40:41], 3, v[40:41]
	v_mov_b32_e32 v44, s35
	v_add_co_u32_e32 v40, vcc, s34, v40
	v_addc_co_u32_e32 v41, vcc, v44, v41, vcc
	global_load_dwordx2 v[40:41], v[40:41], off
	s_waitcnt vmcnt(0)
	v_fma_f64 v[3:4], v[42:43], v[40:41], v[3:4]
	s_or_b64 exec, exec, s[76:77]
	s_and_saveexec_b64 s[76:77], s[42:43]
	s_cbranch_execz .LBB16_16
.LBB16_40:                              ;   in Loop: Header=BB16_7 Depth=2
	v_lshlrev_b64 v[41:42], 3, v[5:6]
	v_mov_b32_e32 v43, s39
	v_add_co_u32_e32 v41, vcc, s38, v41
	v_add_u32_e32 v40, v31, v27
	v_addc_co_u32_e32 v42, vcc, v43, v42, vcc
	global_load_dwordx2 v[42:43], v[41:42], off offset:64
	v_ashrrev_i32_e32 v41, 31, v40
	v_lshlrev_b64 v[40:41], 3, v[40:41]
	v_mov_b32_e32 v44, s35
	v_add_co_u32_e32 v40, vcc, s34, v40
	v_addc_co_u32_e32 v41, vcc, v44, v41, vcc
	global_load_dwordx2 v[40:41], v[40:41], off
	s_waitcnt vmcnt(0)
	v_fma_f64 v[3:4], v[42:43], v[40:41], v[3:4]
	s_or_b64 exec, exec, s[76:77]
	s_and_saveexec_b64 s[76:77], s[44:45]
	s_cbranch_execz .LBB16_17
.LBB16_41:                              ;   in Loop: Header=BB16_7 Depth=2
	v_lshlrev_b64 v[41:42], 3, v[5:6]
	v_mov_b32_e32 v43, s39
	v_add_co_u32_e32 v41, vcc, s38, v41
	v_add_u32_e32 v40, v31, v26
	v_addc_co_u32_e32 v42, vcc, v43, v42, vcc
	global_load_dwordx2 v[42:43], v[41:42], off offset:72
	v_ashrrev_i32_e32 v41, 31, v40
	v_lshlrev_b64 v[40:41], 3, v[40:41]
	v_mov_b32_e32 v44, s35
	v_add_co_u32_e32 v40, vcc, s34, v40
	v_addc_co_u32_e32 v41, vcc, v44, v41, vcc
	global_load_dwordx2 v[40:41], v[40:41], off
	s_waitcnt vmcnt(0)
	v_fma_f64 v[3:4], v[42:43], v[40:41], v[3:4]
	s_or_b64 exec, exec, s[76:77]
	s_and_saveexec_b64 s[76:77], s[46:47]
	s_cbranch_execz .LBB16_18
.LBB16_42:                              ;   in Loop: Header=BB16_7 Depth=2
	v_lshlrev_b64 v[41:42], 3, v[5:6]
	v_mov_b32_e32 v43, s39
	v_add_co_u32_e32 v41, vcc, s38, v41
	v_add_u32_e32 v40, v31, v34
	v_addc_co_u32_e32 v42, vcc, v43, v42, vcc
	global_load_dwordx2 v[42:43], v[41:42], off offset:80
	v_ashrrev_i32_e32 v41, 31, v40
	v_lshlrev_b64 v[40:41], 3, v[40:41]
	v_mov_b32_e32 v44, s35
	v_add_co_u32_e32 v40, vcc, s34, v40
	v_addc_co_u32_e32 v41, vcc, v44, v41, vcc
	global_load_dwordx2 v[40:41], v[40:41], off
	s_waitcnt vmcnt(0)
	v_fma_f64 v[3:4], v[42:43], v[40:41], v[3:4]
	s_or_b64 exec, exec, s[76:77]
	s_and_saveexec_b64 s[76:77], s[48:49]
	s_cbranch_execz .LBB16_19
.LBB16_43:                              ;   in Loop: Header=BB16_7 Depth=2
	v_lshlrev_b64 v[41:42], 3, v[5:6]
	v_mov_b32_e32 v43, s39
	v_add_co_u32_e32 v41, vcc, s38, v41
	v_add_u32_e32 v40, v31, v25
	v_addc_co_u32_e32 v42, vcc, v43, v42, vcc
	global_load_dwordx2 v[42:43], v[41:42], off offset:88
	v_ashrrev_i32_e32 v41, 31, v40
	v_lshlrev_b64 v[40:41], 3, v[40:41]
	v_mov_b32_e32 v44, s35
	v_add_co_u32_e32 v40, vcc, s34, v40
	v_addc_co_u32_e32 v41, vcc, v44, v41, vcc
	global_load_dwordx2 v[40:41], v[40:41], off
	s_waitcnt vmcnt(0)
	v_fma_f64 v[3:4], v[42:43], v[40:41], v[3:4]
	s_or_b64 exec, exec, s[76:77]
	s_and_saveexec_b64 s[76:77], s[50:51]
	s_cbranch_execz .LBB16_20
.LBB16_44:                              ;   in Loop: Header=BB16_7 Depth=2
	v_lshlrev_b64 v[41:42], 3, v[5:6]
	v_mov_b32_e32 v43, s39
	v_add_co_u32_e32 v41, vcc, s38, v41
	v_add_u32_e32 v40, v31, v24
	v_addc_co_u32_e32 v42, vcc, v43, v42, vcc
	global_load_dwordx2 v[42:43], v[41:42], off offset:96
	v_ashrrev_i32_e32 v41, 31, v40
	v_lshlrev_b64 v[40:41], 3, v[40:41]
	v_mov_b32_e32 v44, s35
	v_add_co_u32_e32 v40, vcc, s34, v40
	v_addc_co_u32_e32 v41, vcc, v44, v41, vcc
	global_load_dwordx2 v[40:41], v[40:41], off
	s_waitcnt vmcnt(0)
	v_fma_f64 v[3:4], v[42:43], v[40:41], v[3:4]
	s_or_b64 exec, exec, s[76:77]
	s_and_saveexec_b64 s[76:77], s[52:53]
	s_cbranch_execz .LBB16_21
.LBB16_45:                              ;   in Loop: Header=BB16_7 Depth=2
	v_lshlrev_b64 v[41:42], 3, v[5:6]
	v_mov_b32_e32 v43, s39
	v_add_co_u32_e32 v41, vcc, s38, v41
	v_add_u32_e32 v40, v31, v23
	v_addc_co_u32_e32 v42, vcc, v43, v42, vcc
	global_load_dwordx2 v[42:43], v[41:42], off offset:104
	v_ashrrev_i32_e32 v41, 31, v40
	v_lshlrev_b64 v[40:41], 3, v[40:41]
	v_mov_b32_e32 v44, s35
	v_add_co_u32_e32 v40, vcc, s34, v40
	v_addc_co_u32_e32 v41, vcc, v44, v41, vcc
	global_load_dwordx2 v[40:41], v[40:41], off
	s_waitcnt vmcnt(0)
	v_fma_f64 v[3:4], v[42:43], v[40:41], v[3:4]
	s_or_b64 exec, exec, s[76:77]
	s_and_saveexec_b64 s[76:77], s[54:55]
	s_cbranch_execz .LBB16_22
.LBB16_46:                              ;   in Loop: Header=BB16_7 Depth=2
	v_lshlrev_b64 v[41:42], 3, v[5:6]
	v_mov_b32_e32 v43, s39
	v_add_co_u32_e32 v41, vcc, s38, v41
	v_add_u32_e32 v40, v31, v22
	v_addc_co_u32_e32 v42, vcc, v43, v42, vcc
	global_load_dwordx2 v[42:43], v[41:42], off offset:112
	v_ashrrev_i32_e32 v41, 31, v40
	v_lshlrev_b64 v[40:41], 3, v[40:41]
	v_mov_b32_e32 v44, s35
	v_add_co_u32_e32 v40, vcc, s34, v40
	v_addc_co_u32_e32 v41, vcc, v44, v41, vcc
	global_load_dwordx2 v[40:41], v[40:41], off
	s_waitcnt vmcnt(0)
	v_fma_f64 v[3:4], v[42:43], v[40:41], v[3:4]
	s_or_b64 exec, exec, s[76:77]
	s_and_saveexec_b64 s[76:77], s[56:57]
	s_cbranch_execz .LBB16_23
.LBB16_47:                              ;   in Loop: Header=BB16_7 Depth=2
	v_lshlrev_b64 v[41:42], 3, v[5:6]
	v_mov_b32_e32 v43, s39
	v_add_co_u32_e32 v41, vcc, s38, v41
	v_add_u32_e32 v40, v31, v33
	v_addc_co_u32_e32 v42, vcc, v43, v42, vcc
	global_load_dwordx2 v[42:43], v[41:42], off offset:120
	v_ashrrev_i32_e32 v41, 31, v40
	v_lshlrev_b64 v[40:41], 3, v[40:41]
	v_mov_b32_e32 v44, s35
	v_add_co_u32_e32 v40, vcc, s34, v40
	v_addc_co_u32_e32 v41, vcc, v44, v41, vcc
	global_load_dwordx2 v[40:41], v[40:41], off
	s_waitcnt vmcnt(0)
	v_fma_f64 v[3:4], v[42:43], v[40:41], v[3:4]
	s_or_b64 exec, exec, s[76:77]
	s_and_saveexec_b64 s[76:77], s[58:59]
	s_cbranch_execz .LBB16_24
.LBB16_48:                              ;   in Loop: Header=BB16_7 Depth=2
	v_lshlrev_b64 v[41:42], 3, v[5:6]
	v_mov_b32_e32 v43, s39
	v_add_co_u32_e32 v41, vcc, s38, v41
	v_add_u32_e32 v40, v31, v21
	v_addc_co_u32_e32 v42, vcc, v43, v42, vcc
	global_load_dwordx2 v[42:43], v[41:42], off offset:128
	v_ashrrev_i32_e32 v41, 31, v40
	v_lshlrev_b64 v[40:41], 3, v[40:41]
	v_mov_b32_e32 v44, s35
	v_add_co_u32_e32 v40, vcc, s34, v40
	v_addc_co_u32_e32 v41, vcc, v44, v41, vcc
	global_load_dwordx2 v[40:41], v[40:41], off
	s_waitcnt vmcnt(0)
	v_fma_f64 v[3:4], v[42:43], v[40:41], v[3:4]
	s_or_b64 exec, exec, s[76:77]
	s_and_saveexec_b64 s[76:77], s[60:61]
	s_cbranch_execz .LBB16_25
.LBB16_49:                              ;   in Loop: Header=BB16_7 Depth=2
	v_lshlrev_b64 v[41:42], 3, v[5:6]
	v_mov_b32_e32 v43, s39
	v_add_co_u32_e32 v41, vcc, s38, v41
	v_add_u32_e32 v40, v31, v20
	v_addc_co_u32_e32 v42, vcc, v43, v42, vcc
	global_load_dwordx2 v[42:43], v[41:42], off offset:136
	v_ashrrev_i32_e32 v41, 31, v40
	v_lshlrev_b64 v[40:41], 3, v[40:41]
	v_mov_b32_e32 v44, s35
	v_add_co_u32_e32 v40, vcc, s34, v40
	v_addc_co_u32_e32 v41, vcc, v44, v41, vcc
	global_load_dwordx2 v[40:41], v[40:41], off
	s_waitcnt vmcnt(0)
	v_fma_f64 v[3:4], v[42:43], v[40:41], v[3:4]
	s_or_b64 exec, exec, s[76:77]
	s_and_saveexec_b64 s[76:77], s[62:63]
	s_cbranch_execz .LBB16_26
.LBB16_50:                              ;   in Loop: Header=BB16_7 Depth=2
	v_lshlrev_b64 v[41:42], 3, v[5:6]
	v_mov_b32_e32 v43, s39
	v_add_co_u32_e32 v41, vcc, s38, v41
	v_add_u32_e32 v40, v31, v19
	v_addc_co_u32_e32 v42, vcc, v43, v42, vcc
	global_load_dwordx2 v[42:43], v[41:42], off offset:144
	v_ashrrev_i32_e32 v41, 31, v40
	v_lshlrev_b64 v[40:41], 3, v[40:41]
	v_mov_b32_e32 v44, s35
	v_add_co_u32_e32 v40, vcc, s34, v40
	v_addc_co_u32_e32 v41, vcc, v44, v41, vcc
	global_load_dwordx2 v[40:41], v[40:41], off
	s_waitcnt vmcnt(0)
	v_fma_f64 v[3:4], v[42:43], v[40:41], v[3:4]
	s_or_b64 exec, exec, s[76:77]
	s_and_saveexec_b64 s[76:77], s[64:65]
	s_cbranch_execz .LBB16_27
.LBB16_51:                              ;   in Loop: Header=BB16_7 Depth=2
	v_lshlrev_b64 v[41:42], 3, v[5:6]
	v_mov_b32_e32 v43, s39
	v_add_co_u32_e32 v41, vcc, s38, v41
	v_add_u32_e32 v40, v31, v18
	v_addc_co_u32_e32 v42, vcc, v43, v42, vcc
	global_load_dwordx2 v[42:43], v[41:42], off offset:152
	v_ashrrev_i32_e32 v41, 31, v40
	v_lshlrev_b64 v[40:41], 3, v[40:41]
	v_mov_b32_e32 v44, s35
	v_add_co_u32_e32 v40, vcc, s34, v40
	v_addc_co_u32_e32 v41, vcc, v44, v41, vcc
	global_load_dwordx2 v[40:41], v[40:41], off
	s_waitcnt vmcnt(0)
	v_fma_f64 v[3:4], v[42:43], v[40:41], v[3:4]
	s_or_b64 exec, exec, s[76:77]
	s_and_saveexec_b64 s[76:77], s[66:67]
	s_cbranch_execz .LBB16_28
.LBB16_52:                              ;   in Loop: Header=BB16_7 Depth=2
	v_lshlrev_b64 v[41:42], 3, v[5:6]
	v_mov_b32_e32 v43, s39
	v_add_co_u32_e32 v41, vcc, s38, v41
	v_add_u32_e32 v40, v31, v32
	v_addc_co_u32_e32 v42, vcc, v43, v42, vcc
	global_load_dwordx2 v[42:43], v[41:42], off offset:160
	v_ashrrev_i32_e32 v41, 31, v40
	v_lshlrev_b64 v[40:41], 3, v[40:41]
	v_mov_b32_e32 v44, s35
	v_add_co_u32_e32 v40, vcc, s34, v40
	v_addc_co_u32_e32 v41, vcc, v44, v41, vcc
	global_load_dwordx2 v[40:41], v[40:41], off
	s_waitcnt vmcnt(0)
	v_fma_f64 v[3:4], v[42:43], v[40:41], v[3:4]
	s_or_b64 exec, exec, s[76:77]
	s_and_saveexec_b64 s[76:77], s[68:69]
	s_cbranch_execz .LBB16_29
.LBB16_53:                              ;   in Loop: Header=BB16_7 Depth=2
	v_lshlrev_b64 v[41:42], 3, v[5:6]
	v_mov_b32_e32 v43, s39
	v_add_co_u32_e32 v41, vcc, s38, v41
	v_add_u32_e32 v40, v31, v17
	v_addc_co_u32_e32 v42, vcc, v43, v42, vcc
	global_load_dwordx2 v[42:43], v[41:42], off offset:168
	v_ashrrev_i32_e32 v41, 31, v40
	v_lshlrev_b64 v[40:41], 3, v[40:41]
	v_mov_b32_e32 v44, s35
	v_add_co_u32_e32 v40, vcc, s34, v40
	v_addc_co_u32_e32 v41, vcc, v44, v41, vcc
	global_load_dwordx2 v[40:41], v[40:41], off
	s_waitcnt vmcnt(0)
	v_fma_f64 v[3:4], v[42:43], v[40:41], v[3:4]
	s_or_b64 exec, exec, s[76:77]
	s_and_saveexec_b64 s[76:77], s[70:71]
	s_cbranch_execz .LBB16_30
.LBB16_54:                              ;   in Loop: Header=BB16_7 Depth=2
	v_lshlrev_b64 v[41:42], 3, v[5:6]
	v_mov_b32_e32 v43, s39
	v_add_co_u32_e32 v41, vcc, s38, v41
	v_add_u32_e32 v40, v31, v16
	v_addc_co_u32_e32 v42, vcc, v43, v42, vcc
	global_load_dwordx2 v[42:43], v[41:42], off offset:176
	v_ashrrev_i32_e32 v41, 31, v40
	v_lshlrev_b64 v[40:41], 3, v[40:41]
	v_mov_b32_e32 v44, s35
	v_add_co_u32_e32 v40, vcc, s34, v40
	v_addc_co_u32_e32 v41, vcc, v44, v41, vcc
	global_load_dwordx2 v[40:41], v[40:41], off
	s_waitcnt vmcnt(0)
	v_fma_f64 v[3:4], v[42:43], v[40:41], v[3:4]
	s_or_b64 exec, exec, s[76:77]
	s_and_saveexec_b64 s[76:77], s[72:73]
	s_cbranch_execz .LBB16_31
.LBB16_55:                              ;   in Loop: Header=BB16_7 Depth=2
	v_lshlrev_b64 v[41:42], 3, v[5:6]
	v_mov_b32_e32 v43, s39
	v_add_co_u32_e32 v41, vcc, s38, v41
	v_add_u32_e32 v40, v31, v15
	v_addc_co_u32_e32 v42, vcc, v43, v42, vcc
	global_load_dwordx2 v[42:43], v[41:42], off offset:184
	v_ashrrev_i32_e32 v41, 31, v40
	v_lshlrev_b64 v[40:41], 3, v[40:41]
	v_mov_b32_e32 v44, s35
	v_add_co_u32_e32 v40, vcc, s34, v40
	v_addc_co_u32_e32 v41, vcc, v44, v41, vcc
	global_load_dwordx2 v[40:41], v[40:41], off
	s_waitcnt vmcnt(0)
	v_fma_f64 v[3:4], v[42:43], v[40:41], v[3:4]
	s_or_b64 exec, exec, s[76:77]
	s_and_saveexec_b64 s[76:77], s[74:75]
	s_cbranch_execz .LBB16_6
.LBB16_56:                              ;   in Loop: Header=BB16_7 Depth=2
	v_lshlrev_b64 v[41:42], 3, v[5:6]
	v_mov_b32_e32 v6, s39
	v_add_co_u32_e32 v41, vcc, s38, v41
	v_add_u32_e32 v40, v31, v14
	v_addc_co_u32_e32 v42, vcc, v6, v42, vcc
	global_load_dwordx2 v[42:43], v[41:42], off offset:192
	v_ashrrev_i32_e32 v41, 31, v40
	v_lshlrev_b64 v[40:41], 3, v[40:41]
	v_mov_b32_e32 v6, s35
	v_add_co_u32_e32 v40, vcc, s34, v40
	v_addc_co_u32_e32 v41, vcc, v6, v41, vcc
	global_load_dwordx2 v[40:41], v[40:41], off
	s_waitcnt vmcnt(0)
	v_fma_f64 v[3:4], v[42:43], v[40:41], v[3:4]
	s_branch .LBB16_6
.LBB16_57:
	s_endpgm
	.section	.rodata,"a",@progbits
	.p2align	6, 0x0
	.amdhsa_kernel _ZN2at6native12_GLOBAL__N_132conv_depthwise2d_backward_kernelILi5ELi1EdiEEvN5torch10headeronly6detail27GenericPackedTensorAccessorINS5_14TensorAccessorIN3c108ArrayRefIlEEKT1_Lm3ENS4_16DefaultPtrTraitsEiEENS_6detail16IndexBoundsCheckILm4EiEESC_Lm4ESD_iEENS6_INS7_ISA_SB_Lm3ESD_iEESH_SB_Lm4ESD_iEESI_T2_iiiiiiiiiiiiiii
		.amdhsa_group_segment_fixed_size 0
		.amdhsa_private_segment_fixed_size 0
		.amdhsa_kernarg_size 440
		.amdhsa_user_sgpr_count 6
		.amdhsa_user_sgpr_private_segment_buffer 1
		.amdhsa_user_sgpr_dispatch_ptr 0
		.amdhsa_user_sgpr_queue_ptr 0
		.amdhsa_user_sgpr_kernarg_segment_ptr 1
		.amdhsa_user_sgpr_dispatch_id 0
		.amdhsa_user_sgpr_flat_scratch_init 0
		.amdhsa_user_sgpr_private_segment_size 0
		.amdhsa_uses_dynamic_stack 0
		.amdhsa_system_sgpr_private_segment_wavefront_offset 0
		.amdhsa_system_sgpr_workgroup_id_x 1
		.amdhsa_system_sgpr_workgroup_id_y 0
		.amdhsa_system_sgpr_workgroup_id_z 0
		.amdhsa_system_sgpr_workgroup_info 0
		.amdhsa_system_vgpr_workitem_id 0
		.amdhsa_next_free_vgpr 46
		.amdhsa_next_free_sgpr 96
		.amdhsa_reserve_vcc 1
		.amdhsa_reserve_flat_scratch 0
		.amdhsa_float_round_mode_32 0
		.amdhsa_float_round_mode_16_64 0
		.amdhsa_float_denorm_mode_32 3
		.amdhsa_float_denorm_mode_16_64 3
		.amdhsa_dx10_clamp 1
		.amdhsa_ieee_mode 1
		.amdhsa_fp16_overflow 0
		.amdhsa_exception_fp_ieee_invalid_op 0
		.amdhsa_exception_fp_denorm_src 0
		.amdhsa_exception_fp_ieee_div_zero 0
		.amdhsa_exception_fp_ieee_overflow 0
		.amdhsa_exception_fp_ieee_underflow 0
		.amdhsa_exception_fp_ieee_inexact 0
		.amdhsa_exception_int_div_zero 0
	.end_amdhsa_kernel
	.section	.text._ZN2at6native12_GLOBAL__N_132conv_depthwise2d_backward_kernelILi5ELi1EdiEEvN5torch10headeronly6detail27GenericPackedTensorAccessorINS5_14TensorAccessorIN3c108ArrayRefIlEEKT1_Lm3ENS4_16DefaultPtrTraitsEiEENS_6detail16IndexBoundsCheckILm4EiEESC_Lm4ESD_iEENS6_INS7_ISA_SB_Lm3ESD_iEESH_SB_Lm4ESD_iEESI_T2_iiiiiiiiiiiiiii,"axG",@progbits,_ZN2at6native12_GLOBAL__N_132conv_depthwise2d_backward_kernelILi5ELi1EdiEEvN5torch10headeronly6detail27GenericPackedTensorAccessorINS5_14TensorAccessorIN3c108ArrayRefIlEEKT1_Lm3ENS4_16DefaultPtrTraitsEiEENS_6detail16IndexBoundsCheckILm4EiEESC_Lm4ESD_iEENS6_INS7_ISA_SB_Lm3ESD_iEESH_SB_Lm4ESD_iEESI_T2_iiiiiiiiiiiiiii,comdat
.Lfunc_end16:
	.size	_ZN2at6native12_GLOBAL__N_132conv_depthwise2d_backward_kernelILi5ELi1EdiEEvN5torch10headeronly6detail27GenericPackedTensorAccessorINS5_14TensorAccessorIN3c108ArrayRefIlEEKT1_Lm3ENS4_16DefaultPtrTraitsEiEENS_6detail16IndexBoundsCheckILm4EiEESC_Lm4ESD_iEENS6_INS7_ISA_SB_Lm3ESD_iEESH_SB_Lm4ESD_iEESI_T2_iiiiiiiiiiiiiii, .Lfunc_end16-_ZN2at6native12_GLOBAL__N_132conv_depthwise2d_backward_kernelILi5ELi1EdiEEvN5torch10headeronly6detail27GenericPackedTensorAccessorINS5_14TensorAccessorIN3c108ArrayRefIlEEKT1_Lm3ENS4_16DefaultPtrTraitsEiEENS_6detail16IndexBoundsCheckILm4EiEESC_Lm4ESD_iEENS6_INS7_ISA_SB_Lm3ESD_iEESH_SB_Lm4ESD_iEESI_T2_iiiiiiiiiiiiiii
                                        ; -- End function
	.set _ZN2at6native12_GLOBAL__N_132conv_depthwise2d_backward_kernelILi5ELi1EdiEEvN5torch10headeronly6detail27GenericPackedTensorAccessorINS5_14TensorAccessorIN3c108ArrayRefIlEEKT1_Lm3ENS4_16DefaultPtrTraitsEiEENS_6detail16IndexBoundsCheckILm4EiEESC_Lm4ESD_iEENS6_INS7_ISA_SB_Lm3ESD_iEESH_SB_Lm4ESD_iEESI_T2_iiiiiiiiiiiiiii.num_vgpr, 46
	.set _ZN2at6native12_GLOBAL__N_132conv_depthwise2d_backward_kernelILi5ELi1EdiEEvN5torch10headeronly6detail27GenericPackedTensorAccessorINS5_14TensorAccessorIN3c108ArrayRefIlEEKT1_Lm3ENS4_16DefaultPtrTraitsEiEENS_6detail16IndexBoundsCheckILm4EiEESC_Lm4ESD_iEENS6_INS7_ISA_SB_Lm3ESD_iEESH_SB_Lm4ESD_iEESI_T2_iiiiiiiiiiiiiii.num_agpr, 0
	.set _ZN2at6native12_GLOBAL__N_132conv_depthwise2d_backward_kernelILi5ELi1EdiEEvN5torch10headeronly6detail27GenericPackedTensorAccessorINS5_14TensorAccessorIN3c108ArrayRefIlEEKT1_Lm3ENS4_16DefaultPtrTraitsEiEENS_6detail16IndexBoundsCheckILm4EiEESC_Lm4ESD_iEENS6_INS7_ISA_SB_Lm3ESD_iEESH_SB_Lm4ESD_iEESI_T2_iiiiiiiiiiiiiii.numbered_sgpr, 96
	.set _ZN2at6native12_GLOBAL__N_132conv_depthwise2d_backward_kernelILi5ELi1EdiEEvN5torch10headeronly6detail27GenericPackedTensorAccessorINS5_14TensorAccessorIN3c108ArrayRefIlEEKT1_Lm3ENS4_16DefaultPtrTraitsEiEENS_6detail16IndexBoundsCheckILm4EiEESC_Lm4ESD_iEENS6_INS7_ISA_SB_Lm3ESD_iEESH_SB_Lm4ESD_iEESI_T2_iiiiiiiiiiiiiii.num_named_barrier, 0
	.set _ZN2at6native12_GLOBAL__N_132conv_depthwise2d_backward_kernelILi5ELi1EdiEEvN5torch10headeronly6detail27GenericPackedTensorAccessorINS5_14TensorAccessorIN3c108ArrayRefIlEEKT1_Lm3ENS4_16DefaultPtrTraitsEiEENS_6detail16IndexBoundsCheckILm4EiEESC_Lm4ESD_iEENS6_INS7_ISA_SB_Lm3ESD_iEESH_SB_Lm4ESD_iEESI_T2_iiiiiiiiiiiiiii.private_seg_size, 0
	.set _ZN2at6native12_GLOBAL__N_132conv_depthwise2d_backward_kernelILi5ELi1EdiEEvN5torch10headeronly6detail27GenericPackedTensorAccessorINS5_14TensorAccessorIN3c108ArrayRefIlEEKT1_Lm3ENS4_16DefaultPtrTraitsEiEENS_6detail16IndexBoundsCheckILm4EiEESC_Lm4ESD_iEENS6_INS7_ISA_SB_Lm3ESD_iEESH_SB_Lm4ESD_iEESI_T2_iiiiiiiiiiiiiii.uses_vcc, 1
	.set _ZN2at6native12_GLOBAL__N_132conv_depthwise2d_backward_kernelILi5ELi1EdiEEvN5torch10headeronly6detail27GenericPackedTensorAccessorINS5_14TensorAccessorIN3c108ArrayRefIlEEKT1_Lm3ENS4_16DefaultPtrTraitsEiEENS_6detail16IndexBoundsCheckILm4EiEESC_Lm4ESD_iEENS6_INS7_ISA_SB_Lm3ESD_iEESH_SB_Lm4ESD_iEESI_T2_iiiiiiiiiiiiiii.uses_flat_scratch, 0
	.set _ZN2at6native12_GLOBAL__N_132conv_depthwise2d_backward_kernelILi5ELi1EdiEEvN5torch10headeronly6detail27GenericPackedTensorAccessorINS5_14TensorAccessorIN3c108ArrayRefIlEEKT1_Lm3ENS4_16DefaultPtrTraitsEiEENS_6detail16IndexBoundsCheckILm4EiEESC_Lm4ESD_iEENS6_INS7_ISA_SB_Lm3ESD_iEESH_SB_Lm4ESD_iEESI_T2_iiiiiiiiiiiiiii.has_dyn_sized_stack, 0
	.set _ZN2at6native12_GLOBAL__N_132conv_depthwise2d_backward_kernelILi5ELi1EdiEEvN5torch10headeronly6detail27GenericPackedTensorAccessorINS5_14TensorAccessorIN3c108ArrayRefIlEEKT1_Lm3ENS4_16DefaultPtrTraitsEiEENS_6detail16IndexBoundsCheckILm4EiEESC_Lm4ESD_iEENS6_INS7_ISA_SB_Lm3ESD_iEESH_SB_Lm4ESD_iEESI_T2_iiiiiiiiiiiiiii.has_recursion, 0
	.set _ZN2at6native12_GLOBAL__N_132conv_depthwise2d_backward_kernelILi5ELi1EdiEEvN5torch10headeronly6detail27GenericPackedTensorAccessorINS5_14TensorAccessorIN3c108ArrayRefIlEEKT1_Lm3ENS4_16DefaultPtrTraitsEiEENS_6detail16IndexBoundsCheckILm4EiEESC_Lm4ESD_iEENS6_INS7_ISA_SB_Lm3ESD_iEESH_SB_Lm4ESD_iEESI_T2_iiiiiiiiiiiiiii.has_indirect_call, 0
	.section	.AMDGPU.csdata,"",@progbits
; Kernel info:
; codeLenInByte = 4208
; TotalNumSgprs: 100
; NumVgprs: 46
; ScratchSize: 0
; MemoryBound: 0
; FloatMode: 240
; IeeeMode: 1
; LDSByteSize: 0 bytes/workgroup (compile time only)
; SGPRBlocks: 12
; VGPRBlocks: 11
; NumSGPRsForWavesPerEU: 100
; NumVGPRsForWavesPerEU: 46
; Occupancy: 5
; WaveLimiterHint : 0
; COMPUTE_PGM_RSRC2:SCRATCH_EN: 0
; COMPUTE_PGM_RSRC2:USER_SGPR: 6
; COMPUTE_PGM_RSRC2:TRAP_HANDLER: 0
; COMPUTE_PGM_RSRC2:TGID_X_EN: 1
; COMPUTE_PGM_RSRC2:TGID_Y_EN: 0
; COMPUTE_PGM_RSRC2:TGID_Z_EN: 0
; COMPUTE_PGM_RSRC2:TIDIG_COMP_CNT: 0
	.section	.text._ZN2at6native12_GLOBAL__N_132conv_depthwise2d_backward_kernelILi5ELi2EdiEEvN5torch10headeronly6detail27GenericPackedTensorAccessorINS5_14TensorAccessorIN3c108ArrayRefIlEEKT1_Lm3ENS4_16DefaultPtrTraitsEiEENS_6detail16IndexBoundsCheckILm4EiEESC_Lm4ESD_iEENS6_INS7_ISA_SB_Lm3ESD_iEESH_SB_Lm4ESD_iEESI_T2_iiiiiiiiiiiiiii,"axG",@progbits,_ZN2at6native12_GLOBAL__N_132conv_depthwise2d_backward_kernelILi5ELi2EdiEEvN5torch10headeronly6detail27GenericPackedTensorAccessorINS5_14TensorAccessorIN3c108ArrayRefIlEEKT1_Lm3ENS4_16DefaultPtrTraitsEiEENS_6detail16IndexBoundsCheckILm4EiEESC_Lm4ESD_iEENS6_INS7_ISA_SB_Lm3ESD_iEESH_SB_Lm4ESD_iEESI_T2_iiiiiiiiiiiiiii,comdat
	.globl	_ZN2at6native12_GLOBAL__N_132conv_depthwise2d_backward_kernelILi5ELi2EdiEEvN5torch10headeronly6detail27GenericPackedTensorAccessorINS5_14TensorAccessorIN3c108ArrayRefIlEEKT1_Lm3ENS4_16DefaultPtrTraitsEiEENS_6detail16IndexBoundsCheckILm4EiEESC_Lm4ESD_iEENS6_INS7_ISA_SB_Lm3ESD_iEESH_SB_Lm4ESD_iEESI_T2_iiiiiiiiiiiiiii ; -- Begin function _ZN2at6native12_GLOBAL__N_132conv_depthwise2d_backward_kernelILi5ELi2EdiEEvN5torch10headeronly6detail27GenericPackedTensorAccessorINS5_14TensorAccessorIN3c108ArrayRefIlEEKT1_Lm3ENS4_16DefaultPtrTraitsEiEENS_6detail16IndexBoundsCheckILm4EiEESC_Lm4ESD_iEENS6_INS7_ISA_SB_Lm3ESD_iEESH_SB_Lm4ESD_iEESI_T2_iiiiiiiiiiiiiii
	.p2align	8
	.type	_ZN2at6native12_GLOBAL__N_132conv_depthwise2d_backward_kernelILi5ELi2EdiEEvN5torch10headeronly6detail27GenericPackedTensorAccessorINS5_14TensorAccessorIN3c108ArrayRefIlEEKT1_Lm3ENS4_16DefaultPtrTraitsEiEENS_6detail16IndexBoundsCheckILm4EiEESC_Lm4ESD_iEENS6_INS7_ISA_SB_Lm3ESD_iEESH_SB_Lm4ESD_iEESI_T2_iiiiiiiiiiiiiii,@function
_ZN2at6native12_GLOBAL__N_132conv_depthwise2d_backward_kernelILi5ELi2EdiEEvN5torch10headeronly6detail27GenericPackedTensorAccessorINS5_14TensorAccessorIN3c108ArrayRefIlEEKT1_Lm3ENS4_16DefaultPtrTraitsEiEENS_6detail16IndexBoundsCheckILm4EiEESC_Lm4ESD_iEENS6_INS7_ISA_SB_Lm3ESD_iEESH_SB_Lm4ESD_iEESI_T2_iiiiiiiiiiiiiii: ; @_ZN2at6native12_GLOBAL__N_132conv_depthwise2d_backward_kernelILi5ELi2EdiEEvN5torch10headeronly6detail27GenericPackedTensorAccessorINS5_14TensorAccessorIN3c108ArrayRefIlEEKT1_Lm3ENS4_16DefaultPtrTraitsEiEENS_6detail16IndexBoundsCheckILm4EiEESC_Lm4ESD_iEENS6_INS7_ISA_SB_Lm3ESD_iEESH_SB_Lm4ESD_iEESI_T2_iiiiiiiiiiiiiii
; %bb.0:
	s_load_dword s2, s[4:5], 0xc4
	s_load_dwordx8 s[8:15], s[4:5], 0x78
	s_add_u32 s0, s4, 0xb8
	s_addc_u32 s1, s5, 0
	v_mov_b32_e32 v1, 0
	s_waitcnt lgkmcnt(0)
	s_and_b32 s2, s2, 0xffff
	v_mov_b32_e32 v2, s6
	v_mad_u64_u32 v[0:1], s[6:7], s2, v2, v[0:1]
	s_ashr_i32 s7, s8, 31
	s_mov_b32 s6, s8
	v_cmp_gt_i64_e32 vcc, s[6:7], v[0:1]
	s_and_saveexec_b64 s[16:17], vcc
	s_cbranch_execz .LBB17_57
; %bb.1:
	s_cmp_gt_i32 s10, 0
	s_cselect_b64 s[28:29], -1, 0
	s_abs_i32 s8, s12
	v_cvt_f32_u32_e32 v2, s8
	s_abs_i32 s33, s13
	v_cvt_f32_u32_e32 v3, s33
	s_abs_i32 s82, s9
	v_rcp_iflag_f32_e32 v2, v2
	v_cvt_f32_u32_e32 v4, s82
	v_rcp_iflag_f32_e32 v3, v3
	s_load_dwordx2 s[26:27], s[4:5], 0x98
	s_load_dwordx2 s[20:21], s[4:5], 0x0
	;; [unrolled: 1-line block ×4, first 2 shown]
	s_load_dword s3, s[0:1], 0x0
	v_mul_f32_e32 v2, 0x4f7ffffe, v2
	v_rcp_iflag_f32_e32 v4, v4
	v_cvt_u32_f32_e32 v2, v2
	v_mul_f32_e32 v3, 0x4f7ffffe, v3
	s_sub_i32 s0, 0, s8
	v_cvt_u32_f32_e32 v3, v3
	v_mul_f32_e32 v4, 0x4f7ffffe, v4
	v_mul_lo_u32 v5, s0, v2
	v_cvt_u32_f32_e32 v4, v4
	s_sub_i32 s0, 0, s33
	v_mul_lo_u32 v6, s0, v3
	s_sub_i32 s0, 0, s82
	v_mul_hi_u32 v5, v2, v5
	v_mul_lo_u32 v7, s0, v4
	v_mul_hi_u32 v8, v3, v6
	s_load_dwordx4 s[16:19], s[4:5], 0xa8
	v_add_u32_e32 v6, v2, v5
	v_mul_hi_u32 v2, v4, v7
	v_add_u32_e32 v7, v3, v8
	s_waitcnt lgkmcnt(0)
	s_mul_i32 s87, s27, s26
	s_mul_i32 s83, s3, s2
	v_add_u32_e32 v8, v4, v2
	v_cndmask_b32_e64 v2, 0, 1, s[28:29]
	s_ashr_i32 s84, s12, 31
	s_ashr_i32 s85, s13, 31
	;; [unrolled: 1-line block ×3, first 2 shown]
	s_mul_i32 s88, s87, s10
	s_mul_i32 s89, s15, s14
	s_mov_b64 s[26:27], 0
	v_cmp_ne_u32_e64 s[0:1], 1, v2
	s_branch .LBB17_4
.LBB17_2:                               ;   in Loop: Header=BB17_4 Depth=1
	v_mov_b32_e32 v2, 0
	v_mov_b32_e32 v3, 0
.LBB17_3:                               ;   in Loop: Header=BB17_4 Depth=1
	v_lshlrev_b64 v[4:5], 3, v[0:1]
	v_add_co_u32_e32 v0, vcc, s83, v0
	v_addc_co_u32_e32 v1, vcc, 0, v1, vcc
	v_cmp_le_i64_e32 vcc, s[6:7], v[0:1]
	v_mov_b32_e32 v9, s23
	v_add_co_u32_e64 v4, s[2:3], s22, v4
	v_addc_co_u32_e64 v5, s[2:3], v9, v5, s[2:3]
	s_or_b64 s[26:27], vcc, s[26:27]
	global_store_dwordx2 v[4:5], v[2:3], off
	s_andn2_b64 exec, exec, s[26:27]
	s_cbranch_execz .LBB17_57
.LBB17_4:                               ; =>This Loop Header: Depth=1
                                        ;     Child Loop BB17_7 Depth 2
	s_and_b64 vcc, exec, s[0:1]
	s_cbranch_vccnz .LBB17_2
; %bb.5:                                ;   in Loop: Header=BB17_4 Depth=1
	v_sub_u32_e32 v2, 0, v0
	v_max_i32_e32 v2, v0, v2
	v_mul_hi_u32 v3, v2, v6
	v_ashrrev_i32_e32 v5, 31, v0
	v_xor_b32_e32 v5, s84, v5
	v_add_u32_e32 v11, s16, v0
	v_mul_lo_u32 v4, v3, s8
	v_add_u32_e32 v9, 1, v3
	v_sub_u32_e32 v2, v2, v4
	v_cmp_le_u32_e32 vcc, s8, v2
	v_subrev_u32_e32 v4, s8, v2
	v_cndmask_b32_e32 v3, v3, v9, vcc
	v_cndmask_b32_e32 v2, v2, v4, vcc
	v_add_u32_e32 v4, 1, v3
	v_cmp_le_u32_e32 vcc, s8, v2
	v_cndmask_b32_e32 v2, v3, v4, vcc
	v_xor_b32_e32 v2, v2, v5
	v_sub_u32_e32 v2, v2, v5
	v_sub_u32_e32 v3, 0, v2
	v_max_i32_e32 v3, v2, v3
	v_mul_hi_u32 v4, v3, v7
	v_ashrrev_i32_e32 v9, 31, v2
	v_xor_b32_e32 v9, s85, v9
	v_add_u32_e32 v19, s17, v2
	v_mul_lo_u32 v5, v4, s33
	v_add_u32_e32 v10, 1, v4
	v_sub_u32_e32 v3, v3, v5
	v_cmp_le_u32_e32 vcc, s33, v3
	v_subrev_u32_e32 v5, s33, v3
	v_cndmask_b32_e32 v4, v4, v10, vcc
	v_cndmask_b32_e32 v3, v3, v5, vcc
	v_add_u32_e32 v5, 1, v4
	v_cmp_le_u32_e32 vcc, s33, v3
	v_cndmask_b32_e32 v3, v4, v5, vcc
	v_xor_b32_e32 v3, v3, v9
	v_sub_u32_e32 v9, v3, v9
	v_sub_u32_e32 v3, 0, v9
	v_max_i32_e32 v3, v9, v3
	v_mul_hi_u32 v4, v3, v8
	v_mul_lo_u32 v16, v9, s13
	v_mul_lo_u32 v5, v4, s82
	v_add_u32_e32 v10, 1, v4
	v_sub_u32_e32 v21, v19, v16
	v_add_u32_e32 v16, s19, v16
	v_sub_u32_e32 v3, v3, v5
	v_cmp_le_u32_e32 vcc, s82, v3
	v_subrev_u32_e32 v5, s82, v3
	v_cndmask_b32_e32 v4, v4, v10, vcc
	v_cndmask_b32_e32 v3, v3, v5, vcc
	v_add_u32_e32 v5, 1, v4
	v_cmp_le_u32_e32 vcc, s82, v3
	v_cndmask_b32_e32 v10, v4, v5, vcc
	v_mul_lo_u32 v4, v2, s12
	v_ashrrev_i32_e32 v3, 1, v21
	v_sub_u32_e32 v24, v19, v16
	v_cmp_gt_i32_e32 vcc, s15, v3
	v_sub_u32_e32 v13, v11, v4
	v_add_u32_e32 v5, s18, v4
	v_ashrrev_i32_e32 v2, 1, v13
	v_sub_u32_e32 v14, v11, v5
	v_add_u32_e32 v12, s18, v5
	v_cmp_lt_i32_e64 s[2:3], -1, v2
	v_cmp_gt_i32_e64 s[4:5], s14, v2
	v_ashrrev_i32_e32 v4, 1, v14
	v_sub_u32_e32 v15, v11, v12
	v_add_u32_e32 v17, s18, v12
	s_and_b64 s[38:39], s[2:3], s[4:5]
	v_cmp_lt_i32_e64 s[2:3], -1, v4
	v_cmp_gt_i32_e64 s[4:5], s14, v4
	v_ashrrev_i32_e32 v5, 1, v15
	v_sub_u32_e32 v12, v11, v17
	v_add_u32_e32 v17, s18, v17
	s_and_b64 s[70:71], s[2:3], s[4:5]
	v_cmp_lt_i32_e64 s[2:3], -1, v5
	v_cmp_gt_i32_e64 s[4:5], s14, v5
	v_sub_u32_e32 v11, v11, v17
	v_ashrrev_i32_e32 v30, 1, v12
	s_and_b64 s[72:73], s[2:3], s[4:5]
	v_cmp_lt_i32_e64 s[2:3], -1, v30
	v_cmp_gt_i32_e64 s[4:5], s14, v30
	v_ashrrev_i32_e32 v29, 1, v11
	s_and_b64 s[74:75], s[2:3], s[4:5]
	v_cmp_lt_i32_e64 s[2:3], -1, v29
	v_cmp_gt_i32_e64 s[4:5], s14, v29
	v_add_u32_e32 v17, s19, v16
	s_and_b64 s[2:3], s[2:3], s[4:5]
	v_ashrrev_i32_e32 v18, 1, v24
	v_sub_u32_e32 v23, v19, v17
	v_add_u32_e32 v20, s19, v17
	s_and_b64 s[28:29], vcc, s[38:39]
	s_and_b64 s[30:31], vcc, s[70:71]
	;; [unrolled: 1-line block ×5, first 2 shown]
	v_cmp_gt_i32_e32 vcc, s15, v18
	v_ashrrev_i32_e32 v16, 1, v23
	v_sub_u32_e32 v22, v19, v20
	v_add_u32_e32 v20, s19, v20
	s_and_b64 s[80:81], vcc, s[38:39]
	s_and_b64 s[78:79], vcc, s[70:71]
	;; [unrolled: 1-line block ×5, first 2 shown]
	v_cmp_gt_i32_e32 vcc, s15, v16
	v_ashrrev_i32_e32 v17, 1, v22
	v_sub_u32_e32 v19, v19, v20
	s_and_b64 s[48:49], vcc, s[38:39]
	s_and_b64 s[50:51], vcc, s[70:71]
	;; [unrolled: 1-line block ×5, first 2 shown]
	v_cmp_gt_i32_e32 vcc, s15, v17
	v_ashrrev_i32_e32 v20, 1, v19
	v_or_b32_e32 v25, v21, v13
	s_and_b64 s[58:59], vcc, s[38:39]
	s_and_b64 s[60:61], vcc, s[70:71]
	;; [unrolled: 1-line block ×5, first 2 shown]
	v_cmp_gt_i32_e32 vcc, s15, v20
	v_and_b32_e32 v25, 1, v25
	s_and_b64 s[68:69], vcc, s[38:39]
	s_and_b64 s[70:71], vcc, s[70:71]
	;; [unrolled: 1-line block ×5, first 2 shown]
	v_cmp_gt_i32_e32 vcc, 0, v3
	v_cmp_eq_u32_e64 s[2:3], 1, v25
	v_or_b32_e32 v25, v21, v14
	s_or_b64 s[2:3], s[2:3], vcc
	s_xor_b64 s[4:5], s[28:29], -1
	v_and_b32_e32 v25, 1, v25
	s_nor_b64 s[4:5], s[2:3], s[4:5]
	v_cmp_eq_u32_e64 s[2:3], 1, v25
	v_or_b32_e32 v25, v21, v15
	s_or_b64 s[2:3], s[2:3], vcc
	s_xor_b64 s[28:29], s[30:31], -1
	v_and_b32_e32 v25, 1, v25
	s_nor_b64 s[28:29], s[2:3], s[28:29]
	v_cmp_eq_u32_e64 s[2:3], 1, v25
	v_or_b32_e32 v25, v21, v12
	s_or_b64 s[2:3], s[2:3], vcc
	s_xor_b64 s[30:31], s[34:35], -1
	v_and_b32_e32 v25, 1, v25
	s_nor_b64 s[30:31], s[2:3], s[30:31]
	v_cmp_eq_u32_e64 s[2:3], 1, v25
	v_or_b32_e32 v21, v21, v11
	s_or_b64 s[2:3], s[2:3], vcc
	s_xor_b64 s[34:35], s[36:37], -1
	v_and_b32_e32 v21, 1, v21
	s_nor_b64 s[34:35], s[2:3], s[34:35]
	v_cmp_eq_u32_e64 s[2:3], 1, v21
	v_or_b32_e32 v21, v24, v13
	s_or_b64 s[2:3], s[2:3], vcc
	s_xor_b64 s[36:37], s[40:41], -1
	v_and_b32_e32 v21, 1, v21
	s_nor_b64 s[36:37], s[2:3], s[36:37]
	v_cmp_gt_i32_e32 vcc, 0, v18
	v_cmp_eq_u32_e64 s[2:3], 1, v21
	v_or_b32_e32 v21, v24, v14
	s_or_b64 s[2:3], s[2:3], vcc
	s_xor_b64 s[38:39], s[80:81], -1
	v_and_b32_e32 v21, 1, v21
	s_nor_b64 s[38:39], s[2:3], s[38:39]
	v_cmp_eq_u32_e64 s[2:3], 1, v21
	v_or_b32_e32 v21, v24, v15
	s_or_b64 s[2:3], s[2:3], vcc
	s_xor_b64 s[40:41], s[78:79], -1
	v_and_b32_e32 v21, 1, v21
	s_nor_b64 s[40:41], s[2:3], s[40:41]
	v_cmp_eq_u32_e64 s[2:3], 1, v21
	v_or_b32_e32 v21, v24, v12
	s_or_b64 s[2:3], s[2:3], vcc
	s_xor_b64 s[42:43], s[42:43], -1
	v_and_b32_e32 v21, 1, v21
	s_nor_b64 s[42:43], s[2:3], s[42:43]
	v_cmp_eq_u32_e64 s[2:3], 1, v21
	v_or_b32_e32 v21, v24, v11
	s_or_b64 s[2:3], s[2:3], vcc
	s_xor_b64 s[44:45], s[44:45], -1
	v_and_b32_e32 v21, 1, v21
	s_nor_b64 s[44:45], s[2:3], s[44:45]
	v_cmp_eq_u32_e64 s[2:3], 1, v21
	v_or_b32_e32 v21, v23, v13
	s_or_b64 s[2:3], s[2:3], vcc
	s_xor_b64 s[46:47], s[46:47], -1
	v_and_b32_e32 v21, 1, v21
	s_nor_b64 s[46:47], s[2:3], s[46:47]
	v_cmp_gt_i32_e32 vcc, 0, v16
	v_cmp_eq_u32_e64 s[2:3], 1, v21
	v_or_b32_e32 v21, v23, v14
	s_or_b64 s[2:3], s[2:3], vcc
	s_xor_b64 s[48:49], s[48:49], -1
	v_and_b32_e32 v21, 1, v21
	s_nor_b64 s[48:49], s[2:3], s[48:49]
	v_cmp_eq_u32_e64 s[2:3], 1, v21
	v_or_b32_e32 v21, v23, v15
	s_or_b64 s[2:3], s[2:3], vcc
	s_xor_b64 s[50:51], s[50:51], -1
	v_and_b32_e32 v21, 1, v21
	s_nor_b64 s[50:51], s[2:3], s[50:51]
	v_cmp_eq_u32_e64 s[2:3], 1, v21
	v_or_b32_e32 v21, v23, v12
	s_or_b64 s[2:3], s[2:3], vcc
	s_xor_b64 s[52:53], s[52:53], -1
	v_and_b32_e32 v21, 1, v21
	s_nor_b64 s[52:53], s[2:3], s[52:53]
	v_cmp_eq_u32_e64 s[2:3], 1, v21
	v_or_b32_e32 v21, v23, v11
	s_or_b64 s[2:3], s[2:3], vcc
	s_xor_b64 s[54:55], s[54:55], -1
	v_and_b32_e32 v21, 1, v21
	s_nor_b64 s[54:55], s[2:3], s[54:55]
	v_cmp_eq_u32_e64 s[2:3], 1, v21
	v_or_b32_e32 v21, v22, v13
	s_or_b64 s[2:3], s[2:3], vcc
	s_xor_b64 s[56:57], s[56:57], -1
	v_and_b32_e32 v21, 1, v21
	s_nor_b64 s[56:57], s[2:3], s[56:57]
	v_cmp_gt_i32_e32 vcc, 0, v17
	v_cmp_eq_u32_e64 s[2:3], 1, v21
	v_or_b32_e32 v21, v22, v14
	s_or_b64 s[2:3], s[2:3], vcc
	s_xor_b64 s[58:59], s[58:59], -1
	v_and_b32_e32 v21, 1, v21
	s_nor_b64 s[58:59], s[2:3], s[58:59]
	v_cmp_eq_u32_e64 s[2:3], 1, v21
	v_or_b32_e32 v21, v22, v15
	s_or_b64 s[2:3], s[2:3], vcc
	s_xor_b64 s[60:61], s[60:61], -1
	v_and_b32_e32 v21, 1, v21
	s_nor_b64 s[60:61], s[2:3], s[60:61]
	v_cmp_eq_u32_e64 s[2:3], 1, v21
	v_or_b32_e32 v21, v22, v12
	s_or_b64 s[2:3], s[2:3], vcc
	s_xor_b64 s[62:63], s[62:63], -1
	v_and_b32_e32 v21, 1, v21
	s_nor_b64 s[62:63], s[2:3], s[62:63]
	v_cmp_eq_u32_e64 s[2:3], 1, v21
	v_or_b32_e32 v21, v22, v11
	s_or_b64 s[2:3], s[2:3], vcc
	s_xor_b64 s[64:65], s[64:65], -1
	v_and_b32_e32 v21, 1, v21
	s_nor_b64 s[64:65], s[2:3], s[64:65]
	v_cmp_eq_u32_e64 s[2:3], 1, v21
	v_or_b32_e32 v13, v19, v13
	s_or_b64 s[2:3], s[2:3], vcc
	s_xor_b64 s[66:67], s[66:67], -1
	v_and_b32_e32 v13, 1, v13
	s_nor_b64 s[66:67], s[2:3], s[66:67]
	v_cmp_gt_i32_e32 vcc, 0, v20
	v_cmp_eq_u32_e64 s[2:3], 1, v13
	v_or_b32_e32 v13, v19, v14
	s_or_b64 s[2:3], s[2:3], vcc
	s_xor_b64 s[68:69], s[68:69], -1
	v_and_b32_e32 v13, 1, v13
	s_nor_b64 s[68:69], s[2:3], s[68:69]
	v_cmp_eq_u32_e64 s[2:3], 1, v13
	v_or_b32_e32 v13, v19, v15
	s_or_b64 s[2:3], s[2:3], vcc
	s_xor_b64 s[70:71], s[70:71], -1
	v_and_b32_e32 v13, 1, v13
	s_nor_b64 s[70:71], s[2:3], s[70:71]
	v_cmp_eq_u32_e64 s[2:3], 1, v13
	v_ashrrev_i32_e32 v13, 31, v9
	v_xor_b32_e32 v13, s86, v13
	v_xor_b32_e32 v10, v10, v13
	v_sub_u32_e32 v10, v10, v13
	v_mul_lo_u32 v13, v10, s9
	v_mul_lo_u32 v10, v10, s11
	s_or_b64 s[2:3], s[2:3], vcc
	s_xor_b64 s[72:73], s[72:73], -1
	v_sub_u32_e32 v34, v9, v13
	s_nor_b64 s[72:73], s[2:3], s[72:73]
	v_mad_u64_u32 v[9:10], s[2:3], v34, s10, v[10:11]
	v_or_b32_e32 v12, v19, v12
	v_and_b32_e32 v10, 1, v12
	v_mul_lo_u32 v24, s15, v9
	v_cmp_eq_u32_e64 s[2:3], 1, v10
	v_or_b32_e32 v9, v19, v11
	s_or_b64 s[2:3], s[2:3], vcc
	v_add_u32_e32 v10, v20, v24
	v_mul_lo_u32 v25, s14, v10
	v_add_u32_e32 v10, v17, v24
	v_add_u32_e32 v14, v16, v24
	;; [unrolled: 1-line block ×4, first 2 shown]
	v_mul_lo_u32 v26, s14, v10
	v_mul_lo_u32 v27, s14, v14
	;; [unrolled: 1-line block ×4, first 2 shown]
	s_xor_b64 s[74:75], s[74:75], -1
	v_and_b32_e32 v9, 1, v9
	s_nor_b64 s[74:75], s[2:3], s[74:75]
	v_cmp_eq_u32_e64 s[2:3], 1, v9
	v_add_u32_e32 v9, v29, v25
	v_add_u32_e32 v10, v30, v25
	v_add_u32_e32 v11, v5, v25
	v_add_u32_e32 v12, v4, v25
	v_add_u32_e32 v13, v29, v26
	v_add_u32_e32 v14, v30, v26
	v_add_u32_e32 v15, v5, v26
	v_add_u32_e32 v16, v4, v26
	v_add_u32_e32 v17, v29, v27
	v_add_u32_e32 v18, v30, v27
	v_add_u32_e32 v19, v5, v27
	v_add_u32_e32 v20, v4, v27
	v_add_u32_e32 v24, v2, v25
	v_add_u32_e32 v25, v2, v26
	v_add_u32_e32 v26, v2, v27
	v_add_u32_e32 v27, v4, v28
	v_add_u32_e32 v32, v4, v3
	v_mul_lo_u32 v4, s88, v34
	s_or_b64 s[2:3], s[2:3], vcc
	v_add_u32_e32 v21, v29, v28
	v_add_u32_e32 v22, v30, v28
	;; [unrolled: 1-line block ×8, first 2 shown]
	s_xor_b64 s[76:77], s[76:77], -1
	v_mov_b32_e32 v2, 0
	s_nor_b64 s[2:3], s[2:3], s[76:77]
	s_mov_b32 s78, 0
	v_mov_b32_e32 v3, 0
	s_mov_b32 s79, s10
	s_branch .LBB17_7
.LBB17_6:                               ;   in Loop: Header=BB17_7 Depth=2
	s_or_b64 exec, exec, s[76:77]
	s_add_i32 s79, s79, -1
	s_add_i32 s78, s78, s89
	s_cmp_eq_u32 s79, 0
	v_add_u32_e32 v4, s87, v4
	s_cbranch_scc1 .LBB17_3
.LBB17_7:                               ;   Parent Loop BB17_4 Depth=1
                                        ; =>  This Inner Loop Header: Depth=2
	v_ashrrev_i32_e32 v5, 31, v4
	s_and_saveexec_b64 s[76:77], s[4:5]
	s_cbranch_execnz .LBB17_32
; %bb.8:                                ;   in Loop: Header=BB17_7 Depth=2
	s_or_b64 exec, exec, s[76:77]
	s_and_saveexec_b64 s[76:77], s[28:29]
	s_cbranch_execnz .LBB17_33
.LBB17_9:                               ;   in Loop: Header=BB17_7 Depth=2
	s_or_b64 exec, exec, s[76:77]
	s_and_saveexec_b64 s[76:77], s[30:31]
	s_cbranch_execnz .LBB17_34
.LBB17_10:                              ;   in Loop: Header=BB17_7 Depth=2
	s_or_b64 exec, exec, s[76:77]
	s_and_saveexec_b64 s[76:77], s[34:35]
	s_cbranch_execnz .LBB17_35
.LBB17_11:                              ;   in Loop: Header=BB17_7 Depth=2
	s_or_b64 exec, exec, s[76:77]
	s_and_saveexec_b64 s[76:77], s[36:37]
	s_cbranch_execnz .LBB17_36
.LBB17_12:                              ;   in Loop: Header=BB17_7 Depth=2
	s_or_b64 exec, exec, s[76:77]
	s_and_saveexec_b64 s[76:77], s[38:39]
	s_cbranch_execnz .LBB17_37
.LBB17_13:                              ;   in Loop: Header=BB17_7 Depth=2
	s_or_b64 exec, exec, s[76:77]
	s_and_saveexec_b64 s[76:77], s[40:41]
	s_cbranch_execnz .LBB17_38
.LBB17_14:                              ;   in Loop: Header=BB17_7 Depth=2
	s_or_b64 exec, exec, s[76:77]
	s_and_saveexec_b64 s[76:77], s[42:43]
	s_cbranch_execnz .LBB17_39
.LBB17_15:                              ;   in Loop: Header=BB17_7 Depth=2
	s_or_b64 exec, exec, s[76:77]
	s_and_saveexec_b64 s[76:77], s[44:45]
	s_cbranch_execnz .LBB17_40
.LBB17_16:                              ;   in Loop: Header=BB17_7 Depth=2
	s_or_b64 exec, exec, s[76:77]
	s_and_saveexec_b64 s[76:77], s[46:47]
	s_cbranch_execnz .LBB17_41
.LBB17_17:                              ;   in Loop: Header=BB17_7 Depth=2
	s_or_b64 exec, exec, s[76:77]
	s_and_saveexec_b64 s[76:77], s[48:49]
	s_cbranch_execnz .LBB17_42
.LBB17_18:                              ;   in Loop: Header=BB17_7 Depth=2
	s_or_b64 exec, exec, s[76:77]
	s_and_saveexec_b64 s[76:77], s[50:51]
	s_cbranch_execnz .LBB17_43
.LBB17_19:                              ;   in Loop: Header=BB17_7 Depth=2
	s_or_b64 exec, exec, s[76:77]
	s_and_saveexec_b64 s[76:77], s[52:53]
	s_cbranch_execnz .LBB17_44
.LBB17_20:                              ;   in Loop: Header=BB17_7 Depth=2
	s_or_b64 exec, exec, s[76:77]
	s_and_saveexec_b64 s[76:77], s[54:55]
	s_cbranch_execnz .LBB17_45
.LBB17_21:                              ;   in Loop: Header=BB17_7 Depth=2
	s_or_b64 exec, exec, s[76:77]
	s_and_saveexec_b64 s[76:77], s[56:57]
	s_cbranch_execnz .LBB17_46
.LBB17_22:                              ;   in Loop: Header=BB17_7 Depth=2
	s_or_b64 exec, exec, s[76:77]
	s_and_saveexec_b64 s[76:77], s[58:59]
	s_cbranch_execnz .LBB17_47
.LBB17_23:                              ;   in Loop: Header=BB17_7 Depth=2
	s_or_b64 exec, exec, s[76:77]
	s_and_saveexec_b64 s[76:77], s[60:61]
	s_cbranch_execnz .LBB17_48
.LBB17_24:                              ;   in Loop: Header=BB17_7 Depth=2
	s_or_b64 exec, exec, s[76:77]
	s_and_saveexec_b64 s[76:77], s[62:63]
	s_cbranch_execnz .LBB17_49
.LBB17_25:                              ;   in Loop: Header=BB17_7 Depth=2
	s_or_b64 exec, exec, s[76:77]
	s_and_saveexec_b64 s[76:77], s[64:65]
	s_cbranch_execnz .LBB17_50
.LBB17_26:                              ;   in Loop: Header=BB17_7 Depth=2
	s_or_b64 exec, exec, s[76:77]
	s_and_saveexec_b64 s[76:77], s[66:67]
	s_cbranch_execnz .LBB17_51
.LBB17_27:                              ;   in Loop: Header=BB17_7 Depth=2
	s_or_b64 exec, exec, s[76:77]
	s_and_saveexec_b64 s[76:77], s[68:69]
	s_cbranch_execnz .LBB17_52
.LBB17_28:                              ;   in Loop: Header=BB17_7 Depth=2
	s_or_b64 exec, exec, s[76:77]
	s_and_saveexec_b64 s[76:77], s[70:71]
	s_cbranch_execnz .LBB17_53
.LBB17_29:                              ;   in Loop: Header=BB17_7 Depth=2
	s_or_b64 exec, exec, s[76:77]
	s_and_saveexec_b64 s[76:77], s[72:73]
	s_cbranch_execnz .LBB17_54
.LBB17_30:                              ;   in Loop: Header=BB17_7 Depth=2
	s_or_b64 exec, exec, s[76:77]
	s_and_saveexec_b64 s[76:77], s[74:75]
	s_cbranch_execnz .LBB17_55
.LBB17_31:                              ;   in Loop: Header=BB17_7 Depth=2
	s_or_b64 exec, exec, s[76:77]
	s_and_saveexec_b64 s[76:77], s[2:3]
	s_cbranch_execz .LBB17_6
	s_branch .LBB17_56
.LBB17_32:                              ;   in Loop: Header=BB17_7 Depth=2
	v_lshlrev_b64 v[35:36], 3, v[4:5]
	v_mov_b32_e32 v37, s25
	v_add_co_u32_e32 v35, vcc, s24, v35
	v_add_u32_e32 v34, s78, v33
	v_addc_co_u32_e32 v36, vcc, v37, v36, vcc
	global_load_dwordx2 v[36:37], v[35:36], off
	v_ashrrev_i32_e32 v35, 31, v34
	v_lshlrev_b64 v[34:35], 3, v[34:35]
	v_mov_b32_e32 v38, s21
	v_add_co_u32_e32 v34, vcc, s20, v34
	v_addc_co_u32_e32 v35, vcc, v38, v35, vcc
	global_load_dwordx2 v[34:35], v[34:35], off
	s_waitcnt vmcnt(0)
	v_fma_f64 v[2:3], v[36:37], v[34:35], v[2:3]
	s_or_b64 exec, exec, s[76:77]
	s_and_saveexec_b64 s[76:77], s[28:29]
	s_cbranch_execz .LBB17_9
.LBB17_33:                              ;   in Loop: Header=BB17_7 Depth=2
	v_lshlrev_b64 v[35:36], 3, v[4:5]
	v_mov_b32_e32 v37, s25
	v_add_co_u32_e32 v35, vcc, s24, v35
	v_add_u32_e32 v34, s78, v32
	v_addc_co_u32_e32 v36, vcc, v37, v36, vcc
	global_load_dwordx2 v[36:37], v[35:36], off offset:8
	v_ashrrev_i32_e32 v35, 31, v34
	v_lshlrev_b64 v[34:35], 3, v[34:35]
	v_mov_b32_e32 v38, s21
	v_add_co_u32_e32 v34, vcc, s20, v34
	v_addc_co_u32_e32 v35, vcc, v38, v35, vcc
	global_load_dwordx2 v[34:35], v[34:35], off
	s_waitcnt vmcnt(0)
	v_fma_f64 v[2:3], v[36:37], v[34:35], v[2:3]
	s_or_b64 exec, exec, s[76:77]
	s_and_saveexec_b64 s[76:77], s[30:31]
	s_cbranch_execz .LBB17_10
.LBB17_34:                              ;   in Loop: Header=BB17_7 Depth=2
	v_lshlrev_b64 v[35:36], 3, v[4:5]
	v_mov_b32_e32 v37, s25
	v_add_co_u32_e32 v35, vcc, s24, v35
	v_add_u32_e32 v34, s78, v31
	v_addc_co_u32_e32 v36, vcc, v37, v36, vcc
	global_load_dwordx2 v[36:37], v[35:36], off offset:16
	v_ashrrev_i32_e32 v35, 31, v34
	v_lshlrev_b64 v[34:35], 3, v[34:35]
	v_mov_b32_e32 v38, s21
	v_add_co_u32_e32 v34, vcc, s20, v34
	v_addc_co_u32_e32 v35, vcc, v38, v35, vcc
	global_load_dwordx2 v[34:35], v[34:35], off
	s_waitcnt vmcnt(0)
	v_fma_f64 v[2:3], v[36:37], v[34:35], v[2:3]
	s_or_b64 exec, exec, s[76:77]
	s_and_saveexec_b64 s[76:77], s[34:35]
	s_cbranch_execz .LBB17_11
.LBB17_35:                              ;   in Loop: Header=BB17_7 Depth=2
	v_lshlrev_b64 v[35:36], 3, v[4:5]
	v_mov_b32_e32 v37, s25
	v_add_co_u32_e32 v35, vcc, s24, v35
	v_add_u32_e32 v34, s78, v30
	v_addc_co_u32_e32 v36, vcc, v37, v36, vcc
	global_load_dwordx2 v[36:37], v[35:36], off offset:24
	v_ashrrev_i32_e32 v35, 31, v34
	v_lshlrev_b64 v[34:35], 3, v[34:35]
	v_mov_b32_e32 v38, s21
	v_add_co_u32_e32 v34, vcc, s20, v34
	v_addc_co_u32_e32 v35, vcc, v38, v35, vcc
	global_load_dwordx2 v[34:35], v[34:35], off
	s_waitcnt vmcnt(0)
	v_fma_f64 v[2:3], v[36:37], v[34:35], v[2:3]
	s_or_b64 exec, exec, s[76:77]
	s_and_saveexec_b64 s[76:77], s[36:37]
	s_cbranch_execz .LBB17_12
.LBB17_36:                              ;   in Loop: Header=BB17_7 Depth=2
	v_lshlrev_b64 v[35:36], 3, v[4:5]
	v_mov_b32_e32 v37, s25
	v_add_co_u32_e32 v35, vcc, s24, v35
	v_add_u32_e32 v34, s78, v29
	v_addc_co_u32_e32 v36, vcc, v37, v36, vcc
	global_load_dwordx2 v[36:37], v[35:36], off offset:32
	v_ashrrev_i32_e32 v35, 31, v34
	v_lshlrev_b64 v[34:35], 3, v[34:35]
	v_mov_b32_e32 v38, s21
	v_add_co_u32_e32 v34, vcc, s20, v34
	v_addc_co_u32_e32 v35, vcc, v38, v35, vcc
	global_load_dwordx2 v[34:35], v[34:35], off
	s_waitcnt vmcnt(0)
	v_fma_f64 v[2:3], v[36:37], v[34:35], v[2:3]
	s_or_b64 exec, exec, s[76:77]
	s_and_saveexec_b64 s[76:77], s[38:39]
	s_cbranch_execz .LBB17_13
.LBB17_37:                              ;   in Loop: Header=BB17_7 Depth=2
	v_lshlrev_b64 v[35:36], 3, v[4:5]
	v_mov_b32_e32 v37, s25
	v_add_co_u32_e32 v35, vcc, s24, v35
	v_add_u32_e32 v34, s78, v28
	v_addc_co_u32_e32 v36, vcc, v37, v36, vcc
	global_load_dwordx2 v[36:37], v[35:36], off offset:40
	v_ashrrev_i32_e32 v35, 31, v34
	v_lshlrev_b64 v[34:35], 3, v[34:35]
	v_mov_b32_e32 v38, s21
	v_add_co_u32_e32 v34, vcc, s20, v34
	v_addc_co_u32_e32 v35, vcc, v38, v35, vcc
	global_load_dwordx2 v[34:35], v[34:35], off
	s_waitcnt vmcnt(0)
	v_fma_f64 v[2:3], v[36:37], v[34:35], v[2:3]
	s_or_b64 exec, exec, s[76:77]
	s_and_saveexec_b64 s[76:77], s[40:41]
	s_cbranch_execz .LBB17_14
.LBB17_38:                              ;   in Loop: Header=BB17_7 Depth=2
	v_lshlrev_b64 v[35:36], 3, v[4:5]
	v_mov_b32_e32 v37, s25
	v_add_co_u32_e32 v35, vcc, s24, v35
	v_add_u32_e32 v34, s78, v27
	v_addc_co_u32_e32 v36, vcc, v37, v36, vcc
	global_load_dwordx2 v[36:37], v[35:36], off offset:48
	v_ashrrev_i32_e32 v35, 31, v34
	v_lshlrev_b64 v[34:35], 3, v[34:35]
	v_mov_b32_e32 v38, s21
	v_add_co_u32_e32 v34, vcc, s20, v34
	v_addc_co_u32_e32 v35, vcc, v38, v35, vcc
	global_load_dwordx2 v[34:35], v[34:35], off
	s_waitcnt vmcnt(0)
	v_fma_f64 v[2:3], v[36:37], v[34:35], v[2:3]
	s_or_b64 exec, exec, s[76:77]
	s_and_saveexec_b64 s[76:77], s[42:43]
	s_cbranch_execz .LBB17_15
.LBB17_39:                              ;   in Loop: Header=BB17_7 Depth=2
	v_lshlrev_b64 v[35:36], 3, v[4:5]
	v_mov_b32_e32 v37, s25
	v_add_co_u32_e32 v35, vcc, s24, v35
	v_add_u32_e32 v34, s78, v23
	v_addc_co_u32_e32 v36, vcc, v37, v36, vcc
	global_load_dwordx2 v[36:37], v[35:36], off offset:56
	v_ashrrev_i32_e32 v35, 31, v34
	v_lshlrev_b64 v[34:35], 3, v[34:35]
	v_mov_b32_e32 v38, s21
	v_add_co_u32_e32 v34, vcc, s20, v34
	v_addc_co_u32_e32 v35, vcc, v38, v35, vcc
	global_load_dwordx2 v[34:35], v[34:35], off
	s_waitcnt vmcnt(0)
	v_fma_f64 v[2:3], v[36:37], v[34:35], v[2:3]
	s_or_b64 exec, exec, s[76:77]
	s_and_saveexec_b64 s[76:77], s[44:45]
	s_cbranch_execz .LBB17_16
.LBB17_40:                              ;   in Loop: Header=BB17_7 Depth=2
	v_lshlrev_b64 v[35:36], 3, v[4:5]
	v_mov_b32_e32 v37, s25
	v_add_co_u32_e32 v35, vcc, s24, v35
	v_add_u32_e32 v34, s78, v22
	v_addc_co_u32_e32 v36, vcc, v37, v36, vcc
	global_load_dwordx2 v[36:37], v[35:36], off offset:64
	v_ashrrev_i32_e32 v35, 31, v34
	v_lshlrev_b64 v[34:35], 3, v[34:35]
	v_mov_b32_e32 v38, s21
	v_add_co_u32_e32 v34, vcc, s20, v34
	v_addc_co_u32_e32 v35, vcc, v38, v35, vcc
	global_load_dwordx2 v[34:35], v[34:35], off
	s_waitcnt vmcnt(0)
	v_fma_f64 v[2:3], v[36:37], v[34:35], v[2:3]
	s_or_b64 exec, exec, s[76:77]
	s_and_saveexec_b64 s[76:77], s[46:47]
	s_cbranch_execz .LBB17_17
.LBB17_41:                              ;   in Loop: Header=BB17_7 Depth=2
	v_lshlrev_b64 v[35:36], 3, v[4:5]
	v_mov_b32_e32 v37, s25
	v_add_co_u32_e32 v35, vcc, s24, v35
	v_add_u32_e32 v34, s78, v21
	v_addc_co_u32_e32 v36, vcc, v37, v36, vcc
	global_load_dwordx2 v[36:37], v[35:36], off offset:72
	v_ashrrev_i32_e32 v35, 31, v34
	v_lshlrev_b64 v[34:35], 3, v[34:35]
	v_mov_b32_e32 v38, s21
	v_add_co_u32_e32 v34, vcc, s20, v34
	v_addc_co_u32_e32 v35, vcc, v38, v35, vcc
	global_load_dwordx2 v[34:35], v[34:35], off
	s_waitcnt vmcnt(0)
	v_fma_f64 v[2:3], v[36:37], v[34:35], v[2:3]
	s_or_b64 exec, exec, s[76:77]
	s_and_saveexec_b64 s[76:77], s[48:49]
	s_cbranch_execz .LBB17_18
.LBB17_42:                              ;   in Loop: Header=BB17_7 Depth=2
	v_lshlrev_b64 v[35:36], 3, v[4:5]
	v_mov_b32_e32 v37, s25
	v_add_co_u32_e32 v35, vcc, s24, v35
	v_add_u32_e32 v34, s78, v26
	v_addc_co_u32_e32 v36, vcc, v37, v36, vcc
	global_load_dwordx2 v[36:37], v[35:36], off offset:80
	v_ashrrev_i32_e32 v35, 31, v34
	v_lshlrev_b64 v[34:35], 3, v[34:35]
	v_mov_b32_e32 v38, s21
	v_add_co_u32_e32 v34, vcc, s20, v34
	v_addc_co_u32_e32 v35, vcc, v38, v35, vcc
	global_load_dwordx2 v[34:35], v[34:35], off
	s_waitcnt vmcnt(0)
	v_fma_f64 v[2:3], v[36:37], v[34:35], v[2:3]
	s_or_b64 exec, exec, s[76:77]
	s_and_saveexec_b64 s[76:77], s[50:51]
	s_cbranch_execz .LBB17_19
.LBB17_43:                              ;   in Loop: Header=BB17_7 Depth=2
	v_lshlrev_b64 v[35:36], 3, v[4:5]
	v_mov_b32_e32 v37, s25
	v_add_co_u32_e32 v35, vcc, s24, v35
	v_add_u32_e32 v34, s78, v20
	v_addc_co_u32_e32 v36, vcc, v37, v36, vcc
	global_load_dwordx2 v[36:37], v[35:36], off offset:88
	v_ashrrev_i32_e32 v35, 31, v34
	v_lshlrev_b64 v[34:35], 3, v[34:35]
	v_mov_b32_e32 v38, s21
	v_add_co_u32_e32 v34, vcc, s20, v34
	v_addc_co_u32_e32 v35, vcc, v38, v35, vcc
	global_load_dwordx2 v[34:35], v[34:35], off
	s_waitcnt vmcnt(0)
	v_fma_f64 v[2:3], v[36:37], v[34:35], v[2:3]
	s_or_b64 exec, exec, s[76:77]
	s_and_saveexec_b64 s[76:77], s[52:53]
	s_cbranch_execz .LBB17_20
.LBB17_44:                              ;   in Loop: Header=BB17_7 Depth=2
	v_lshlrev_b64 v[35:36], 3, v[4:5]
	v_mov_b32_e32 v37, s25
	v_add_co_u32_e32 v35, vcc, s24, v35
	v_add_u32_e32 v34, s78, v19
	v_addc_co_u32_e32 v36, vcc, v37, v36, vcc
	global_load_dwordx2 v[36:37], v[35:36], off offset:96
	v_ashrrev_i32_e32 v35, 31, v34
	v_lshlrev_b64 v[34:35], 3, v[34:35]
	v_mov_b32_e32 v38, s21
	v_add_co_u32_e32 v34, vcc, s20, v34
	v_addc_co_u32_e32 v35, vcc, v38, v35, vcc
	global_load_dwordx2 v[34:35], v[34:35], off
	s_waitcnt vmcnt(0)
	v_fma_f64 v[2:3], v[36:37], v[34:35], v[2:3]
	s_or_b64 exec, exec, s[76:77]
	s_and_saveexec_b64 s[76:77], s[54:55]
	s_cbranch_execz .LBB17_21
.LBB17_45:                              ;   in Loop: Header=BB17_7 Depth=2
	v_lshlrev_b64 v[35:36], 3, v[4:5]
	v_mov_b32_e32 v37, s25
	v_add_co_u32_e32 v35, vcc, s24, v35
	v_add_u32_e32 v34, s78, v18
	v_addc_co_u32_e32 v36, vcc, v37, v36, vcc
	global_load_dwordx2 v[36:37], v[35:36], off offset:104
	v_ashrrev_i32_e32 v35, 31, v34
	v_lshlrev_b64 v[34:35], 3, v[34:35]
	v_mov_b32_e32 v38, s21
	v_add_co_u32_e32 v34, vcc, s20, v34
	v_addc_co_u32_e32 v35, vcc, v38, v35, vcc
	global_load_dwordx2 v[34:35], v[34:35], off
	s_waitcnt vmcnt(0)
	v_fma_f64 v[2:3], v[36:37], v[34:35], v[2:3]
	s_or_b64 exec, exec, s[76:77]
	s_and_saveexec_b64 s[76:77], s[56:57]
	s_cbranch_execz .LBB17_22
.LBB17_46:                              ;   in Loop: Header=BB17_7 Depth=2
	v_lshlrev_b64 v[35:36], 3, v[4:5]
	v_mov_b32_e32 v37, s25
	v_add_co_u32_e32 v35, vcc, s24, v35
	v_add_u32_e32 v34, s78, v17
	v_addc_co_u32_e32 v36, vcc, v37, v36, vcc
	global_load_dwordx2 v[36:37], v[35:36], off offset:112
	v_ashrrev_i32_e32 v35, 31, v34
	v_lshlrev_b64 v[34:35], 3, v[34:35]
	v_mov_b32_e32 v38, s21
	v_add_co_u32_e32 v34, vcc, s20, v34
	v_addc_co_u32_e32 v35, vcc, v38, v35, vcc
	global_load_dwordx2 v[34:35], v[34:35], off
	s_waitcnt vmcnt(0)
	v_fma_f64 v[2:3], v[36:37], v[34:35], v[2:3]
	s_or_b64 exec, exec, s[76:77]
	s_and_saveexec_b64 s[76:77], s[58:59]
	s_cbranch_execz .LBB17_23
.LBB17_47:                              ;   in Loop: Header=BB17_7 Depth=2
	v_lshlrev_b64 v[35:36], 3, v[4:5]
	v_mov_b32_e32 v37, s25
	v_add_co_u32_e32 v35, vcc, s24, v35
	v_add_u32_e32 v34, s78, v25
	v_addc_co_u32_e32 v36, vcc, v37, v36, vcc
	global_load_dwordx2 v[36:37], v[35:36], off offset:120
	v_ashrrev_i32_e32 v35, 31, v34
	v_lshlrev_b64 v[34:35], 3, v[34:35]
	v_mov_b32_e32 v38, s21
	v_add_co_u32_e32 v34, vcc, s20, v34
	v_addc_co_u32_e32 v35, vcc, v38, v35, vcc
	global_load_dwordx2 v[34:35], v[34:35], off
	s_waitcnt vmcnt(0)
	v_fma_f64 v[2:3], v[36:37], v[34:35], v[2:3]
	s_or_b64 exec, exec, s[76:77]
	s_and_saveexec_b64 s[76:77], s[60:61]
	s_cbranch_execz .LBB17_24
.LBB17_48:                              ;   in Loop: Header=BB17_7 Depth=2
	v_lshlrev_b64 v[35:36], 3, v[4:5]
	v_mov_b32_e32 v37, s25
	v_add_co_u32_e32 v35, vcc, s24, v35
	v_add_u32_e32 v34, s78, v16
	v_addc_co_u32_e32 v36, vcc, v37, v36, vcc
	global_load_dwordx2 v[36:37], v[35:36], off offset:128
	v_ashrrev_i32_e32 v35, 31, v34
	v_lshlrev_b64 v[34:35], 3, v[34:35]
	v_mov_b32_e32 v38, s21
	v_add_co_u32_e32 v34, vcc, s20, v34
	v_addc_co_u32_e32 v35, vcc, v38, v35, vcc
	global_load_dwordx2 v[34:35], v[34:35], off
	s_waitcnt vmcnt(0)
	v_fma_f64 v[2:3], v[36:37], v[34:35], v[2:3]
	s_or_b64 exec, exec, s[76:77]
	s_and_saveexec_b64 s[76:77], s[62:63]
	s_cbranch_execz .LBB17_25
.LBB17_49:                              ;   in Loop: Header=BB17_7 Depth=2
	v_lshlrev_b64 v[35:36], 3, v[4:5]
	v_mov_b32_e32 v37, s25
	v_add_co_u32_e32 v35, vcc, s24, v35
	v_add_u32_e32 v34, s78, v15
	v_addc_co_u32_e32 v36, vcc, v37, v36, vcc
	global_load_dwordx2 v[36:37], v[35:36], off offset:136
	v_ashrrev_i32_e32 v35, 31, v34
	v_lshlrev_b64 v[34:35], 3, v[34:35]
	v_mov_b32_e32 v38, s21
	v_add_co_u32_e32 v34, vcc, s20, v34
	v_addc_co_u32_e32 v35, vcc, v38, v35, vcc
	global_load_dwordx2 v[34:35], v[34:35], off
	s_waitcnt vmcnt(0)
	v_fma_f64 v[2:3], v[36:37], v[34:35], v[2:3]
	s_or_b64 exec, exec, s[76:77]
	s_and_saveexec_b64 s[76:77], s[64:65]
	s_cbranch_execz .LBB17_26
.LBB17_50:                              ;   in Loop: Header=BB17_7 Depth=2
	v_lshlrev_b64 v[35:36], 3, v[4:5]
	v_mov_b32_e32 v37, s25
	v_add_co_u32_e32 v35, vcc, s24, v35
	v_add_u32_e32 v34, s78, v14
	v_addc_co_u32_e32 v36, vcc, v37, v36, vcc
	global_load_dwordx2 v[36:37], v[35:36], off offset:144
	v_ashrrev_i32_e32 v35, 31, v34
	v_lshlrev_b64 v[34:35], 3, v[34:35]
	v_mov_b32_e32 v38, s21
	v_add_co_u32_e32 v34, vcc, s20, v34
	v_addc_co_u32_e32 v35, vcc, v38, v35, vcc
	global_load_dwordx2 v[34:35], v[34:35], off
	s_waitcnt vmcnt(0)
	v_fma_f64 v[2:3], v[36:37], v[34:35], v[2:3]
	s_or_b64 exec, exec, s[76:77]
	s_and_saveexec_b64 s[76:77], s[66:67]
	s_cbranch_execz .LBB17_27
.LBB17_51:                              ;   in Loop: Header=BB17_7 Depth=2
	v_lshlrev_b64 v[35:36], 3, v[4:5]
	v_mov_b32_e32 v37, s25
	v_add_co_u32_e32 v35, vcc, s24, v35
	v_add_u32_e32 v34, s78, v13
	v_addc_co_u32_e32 v36, vcc, v37, v36, vcc
	global_load_dwordx2 v[36:37], v[35:36], off offset:152
	v_ashrrev_i32_e32 v35, 31, v34
	v_lshlrev_b64 v[34:35], 3, v[34:35]
	v_mov_b32_e32 v38, s21
	v_add_co_u32_e32 v34, vcc, s20, v34
	v_addc_co_u32_e32 v35, vcc, v38, v35, vcc
	global_load_dwordx2 v[34:35], v[34:35], off
	s_waitcnt vmcnt(0)
	v_fma_f64 v[2:3], v[36:37], v[34:35], v[2:3]
	s_or_b64 exec, exec, s[76:77]
	s_and_saveexec_b64 s[76:77], s[68:69]
	s_cbranch_execz .LBB17_28
.LBB17_52:                              ;   in Loop: Header=BB17_7 Depth=2
	v_lshlrev_b64 v[35:36], 3, v[4:5]
	v_mov_b32_e32 v37, s25
	v_add_co_u32_e32 v35, vcc, s24, v35
	v_add_u32_e32 v34, s78, v24
	v_addc_co_u32_e32 v36, vcc, v37, v36, vcc
	global_load_dwordx2 v[36:37], v[35:36], off offset:160
	v_ashrrev_i32_e32 v35, 31, v34
	v_lshlrev_b64 v[34:35], 3, v[34:35]
	v_mov_b32_e32 v38, s21
	v_add_co_u32_e32 v34, vcc, s20, v34
	v_addc_co_u32_e32 v35, vcc, v38, v35, vcc
	global_load_dwordx2 v[34:35], v[34:35], off
	s_waitcnt vmcnt(0)
	v_fma_f64 v[2:3], v[36:37], v[34:35], v[2:3]
	s_or_b64 exec, exec, s[76:77]
	s_and_saveexec_b64 s[76:77], s[70:71]
	s_cbranch_execz .LBB17_29
.LBB17_53:                              ;   in Loop: Header=BB17_7 Depth=2
	v_lshlrev_b64 v[35:36], 3, v[4:5]
	v_mov_b32_e32 v37, s25
	v_add_co_u32_e32 v35, vcc, s24, v35
	v_add_u32_e32 v34, s78, v12
	v_addc_co_u32_e32 v36, vcc, v37, v36, vcc
	global_load_dwordx2 v[36:37], v[35:36], off offset:168
	v_ashrrev_i32_e32 v35, 31, v34
	v_lshlrev_b64 v[34:35], 3, v[34:35]
	v_mov_b32_e32 v38, s21
	v_add_co_u32_e32 v34, vcc, s20, v34
	v_addc_co_u32_e32 v35, vcc, v38, v35, vcc
	global_load_dwordx2 v[34:35], v[34:35], off
	s_waitcnt vmcnt(0)
	v_fma_f64 v[2:3], v[36:37], v[34:35], v[2:3]
	s_or_b64 exec, exec, s[76:77]
	s_and_saveexec_b64 s[76:77], s[72:73]
	s_cbranch_execz .LBB17_30
.LBB17_54:                              ;   in Loop: Header=BB17_7 Depth=2
	v_lshlrev_b64 v[35:36], 3, v[4:5]
	v_mov_b32_e32 v37, s25
	v_add_co_u32_e32 v35, vcc, s24, v35
	v_add_u32_e32 v34, s78, v11
	v_addc_co_u32_e32 v36, vcc, v37, v36, vcc
	global_load_dwordx2 v[36:37], v[35:36], off offset:176
	v_ashrrev_i32_e32 v35, 31, v34
	v_lshlrev_b64 v[34:35], 3, v[34:35]
	v_mov_b32_e32 v38, s21
	v_add_co_u32_e32 v34, vcc, s20, v34
	v_addc_co_u32_e32 v35, vcc, v38, v35, vcc
	global_load_dwordx2 v[34:35], v[34:35], off
	s_waitcnt vmcnt(0)
	v_fma_f64 v[2:3], v[36:37], v[34:35], v[2:3]
	s_or_b64 exec, exec, s[76:77]
	s_and_saveexec_b64 s[76:77], s[74:75]
	s_cbranch_execz .LBB17_31
.LBB17_55:                              ;   in Loop: Header=BB17_7 Depth=2
	v_lshlrev_b64 v[35:36], 3, v[4:5]
	v_mov_b32_e32 v37, s25
	v_add_co_u32_e32 v35, vcc, s24, v35
	v_add_u32_e32 v34, s78, v10
	v_addc_co_u32_e32 v36, vcc, v37, v36, vcc
	global_load_dwordx2 v[36:37], v[35:36], off offset:184
	v_ashrrev_i32_e32 v35, 31, v34
	v_lshlrev_b64 v[34:35], 3, v[34:35]
	v_mov_b32_e32 v38, s21
	v_add_co_u32_e32 v34, vcc, s20, v34
	v_addc_co_u32_e32 v35, vcc, v38, v35, vcc
	global_load_dwordx2 v[34:35], v[34:35], off
	s_waitcnt vmcnt(0)
	v_fma_f64 v[2:3], v[36:37], v[34:35], v[2:3]
	s_or_b64 exec, exec, s[76:77]
	s_and_saveexec_b64 s[76:77], s[2:3]
	s_cbranch_execz .LBB17_6
.LBB17_56:                              ;   in Loop: Header=BB17_7 Depth=2
	v_lshlrev_b64 v[35:36], 3, v[4:5]
	v_mov_b32_e32 v5, s25
	v_add_co_u32_e32 v35, vcc, s24, v35
	v_add_u32_e32 v34, s78, v9
	v_addc_co_u32_e32 v36, vcc, v5, v36, vcc
	global_load_dwordx2 v[36:37], v[35:36], off offset:192
	v_ashrrev_i32_e32 v35, 31, v34
	v_lshlrev_b64 v[34:35], 3, v[34:35]
	v_mov_b32_e32 v5, s21
	v_add_co_u32_e32 v34, vcc, s20, v34
	v_addc_co_u32_e32 v35, vcc, v5, v35, vcc
	global_load_dwordx2 v[34:35], v[34:35], off
	s_waitcnt vmcnt(0)
	v_fma_f64 v[2:3], v[36:37], v[34:35], v[2:3]
	s_branch .LBB17_6
.LBB17_57:
	s_endpgm
	.section	.rodata,"a",@progbits
	.p2align	6, 0x0
	.amdhsa_kernel _ZN2at6native12_GLOBAL__N_132conv_depthwise2d_backward_kernelILi5ELi2EdiEEvN5torch10headeronly6detail27GenericPackedTensorAccessorINS5_14TensorAccessorIN3c108ArrayRefIlEEKT1_Lm3ENS4_16DefaultPtrTraitsEiEENS_6detail16IndexBoundsCheckILm4EiEESC_Lm4ESD_iEENS6_INS7_ISA_SB_Lm3ESD_iEESH_SB_Lm4ESD_iEESI_T2_iiiiiiiiiiiiiii
		.amdhsa_group_segment_fixed_size 0
		.amdhsa_private_segment_fixed_size 0
		.amdhsa_kernarg_size 440
		.amdhsa_user_sgpr_count 6
		.amdhsa_user_sgpr_private_segment_buffer 1
		.amdhsa_user_sgpr_dispatch_ptr 0
		.amdhsa_user_sgpr_queue_ptr 0
		.amdhsa_user_sgpr_kernarg_segment_ptr 1
		.amdhsa_user_sgpr_dispatch_id 0
		.amdhsa_user_sgpr_flat_scratch_init 0
		.amdhsa_user_sgpr_private_segment_size 0
		.amdhsa_uses_dynamic_stack 0
		.amdhsa_system_sgpr_private_segment_wavefront_offset 0
		.amdhsa_system_sgpr_workgroup_id_x 1
		.amdhsa_system_sgpr_workgroup_id_y 0
		.amdhsa_system_sgpr_workgroup_id_z 0
		.amdhsa_system_sgpr_workgroup_info 0
		.amdhsa_system_vgpr_workitem_id 0
		.amdhsa_next_free_vgpr 39
		.amdhsa_next_free_sgpr 90
		.amdhsa_reserve_vcc 1
		.amdhsa_reserve_flat_scratch 0
		.amdhsa_float_round_mode_32 0
		.amdhsa_float_round_mode_16_64 0
		.amdhsa_float_denorm_mode_32 3
		.amdhsa_float_denorm_mode_16_64 3
		.amdhsa_dx10_clamp 1
		.amdhsa_ieee_mode 1
		.amdhsa_fp16_overflow 0
		.amdhsa_exception_fp_ieee_invalid_op 0
		.amdhsa_exception_fp_denorm_src 0
		.amdhsa_exception_fp_ieee_div_zero 0
		.amdhsa_exception_fp_ieee_overflow 0
		.amdhsa_exception_fp_ieee_underflow 0
		.amdhsa_exception_fp_ieee_inexact 0
		.amdhsa_exception_int_div_zero 0
	.end_amdhsa_kernel
	.section	.text._ZN2at6native12_GLOBAL__N_132conv_depthwise2d_backward_kernelILi5ELi2EdiEEvN5torch10headeronly6detail27GenericPackedTensorAccessorINS5_14TensorAccessorIN3c108ArrayRefIlEEKT1_Lm3ENS4_16DefaultPtrTraitsEiEENS_6detail16IndexBoundsCheckILm4EiEESC_Lm4ESD_iEENS6_INS7_ISA_SB_Lm3ESD_iEESH_SB_Lm4ESD_iEESI_T2_iiiiiiiiiiiiiii,"axG",@progbits,_ZN2at6native12_GLOBAL__N_132conv_depthwise2d_backward_kernelILi5ELi2EdiEEvN5torch10headeronly6detail27GenericPackedTensorAccessorINS5_14TensorAccessorIN3c108ArrayRefIlEEKT1_Lm3ENS4_16DefaultPtrTraitsEiEENS_6detail16IndexBoundsCheckILm4EiEESC_Lm4ESD_iEENS6_INS7_ISA_SB_Lm3ESD_iEESH_SB_Lm4ESD_iEESI_T2_iiiiiiiiiiiiiii,comdat
.Lfunc_end17:
	.size	_ZN2at6native12_GLOBAL__N_132conv_depthwise2d_backward_kernelILi5ELi2EdiEEvN5torch10headeronly6detail27GenericPackedTensorAccessorINS5_14TensorAccessorIN3c108ArrayRefIlEEKT1_Lm3ENS4_16DefaultPtrTraitsEiEENS_6detail16IndexBoundsCheckILm4EiEESC_Lm4ESD_iEENS6_INS7_ISA_SB_Lm3ESD_iEESH_SB_Lm4ESD_iEESI_T2_iiiiiiiiiiiiiii, .Lfunc_end17-_ZN2at6native12_GLOBAL__N_132conv_depthwise2d_backward_kernelILi5ELi2EdiEEvN5torch10headeronly6detail27GenericPackedTensorAccessorINS5_14TensorAccessorIN3c108ArrayRefIlEEKT1_Lm3ENS4_16DefaultPtrTraitsEiEENS_6detail16IndexBoundsCheckILm4EiEESC_Lm4ESD_iEENS6_INS7_ISA_SB_Lm3ESD_iEESH_SB_Lm4ESD_iEESI_T2_iiiiiiiiiiiiiii
                                        ; -- End function
	.set _ZN2at6native12_GLOBAL__N_132conv_depthwise2d_backward_kernelILi5ELi2EdiEEvN5torch10headeronly6detail27GenericPackedTensorAccessorINS5_14TensorAccessorIN3c108ArrayRefIlEEKT1_Lm3ENS4_16DefaultPtrTraitsEiEENS_6detail16IndexBoundsCheckILm4EiEESC_Lm4ESD_iEENS6_INS7_ISA_SB_Lm3ESD_iEESH_SB_Lm4ESD_iEESI_T2_iiiiiiiiiiiiiii.num_vgpr, 39
	.set _ZN2at6native12_GLOBAL__N_132conv_depthwise2d_backward_kernelILi5ELi2EdiEEvN5torch10headeronly6detail27GenericPackedTensorAccessorINS5_14TensorAccessorIN3c108ArrayRefIlEEKT1_Lm3ENS4_16DefaultPtrTraitsEiEENS_6detail16IndexBoundsCheckILm4EiEESC_Lm4ESD_iEENS6_INS7_ISA_SB_Lm3ESD_iEESH_SB_Lm4ESD_iEESI_T2_iiiiiiiiiiiiiii.num_agpr, 0
	.set _ZN2at6native12_GLOBAL__N_132conv_depthwise2d_backward_kernelILi5ELi2EdiEEvN5torch10headeronly6detail27GenericPackedTensorAccessorINS5_14TensorAccessorIN3c108ArrayRefIlEEKT1_Lm3ENS4_16DefaultPtrTraitsEiEENS_6detail16IndexBoundsCheckILm4EiEESC_Lm4ESD_iEENS6_INS7_ISA_SB_Lm3ESD_iEESH_SB_Lm4ESD_iEESI_T2_iiiiiiiiiiiiiii.numbered_sgpr, 90
	.set _ZN2at6native12_GLOBAL__N_132conv_depthwise2d_backward_kernelILi5ELi2EdiEEvN5torch10headeronly6detail27GenericPackedTensorAccessorINS5_14TensorAccessorIN3c108ArrayRefIlEEKT1_Lm3ENS4_16DefaultPtrTraitsEiEENS_6detail16IndexBoundsCheckILm4EiEESC_Lm4ESD_iEENS6_INS7_ISA_SB_Lm3ESD_iEESH_SB_Lm4ESD_iEESI_T2_iiiiiiiiiiiiiii.num_named_barrier, 0
	.set _ZN2at6native12_GLOBAL__N_132conv_depthwise2d_backward_kernelILi5ELi2EdiEEvN5torch10headeronly6detail27GenericPackedTensorAccessorINS5_14TensorAccessorIN3c108ArrayRefIlEEKT1_Lm3ENS4_16DefaultPtrTraitsEiEENS_6detail16IndexBoundsCheckILm4EiEESC_Lm4ESD_iEENS6_INS7_ISA_SB_Lm3ESD_iEESH_SB_Lm4ESD_iEESI_T2_iiiiiiiiiiiiiii.private_seg_size, 0
	.set _ZN2at6native12_GLOBAL__N_132conv_depthwise2d_backward_kernelILi5ELi2EdiEEvN5torch10headeronly6detail27GenericPackedTensorAccessorINS5_14TensorAccessorIN3c108ArrayRefIlEEKT1_Lm3ENS4_16DefaultPtrTraitsEiEENS_6detail16IndexBoundsCheckILm4EiEESC_Lm4ESD_iEENS6_INS7_ISA_SB_Lm3ESD_iEESH_SB_Lm4ESD_iEESI_T2_iiiiiiiiiiiiiii.uses_vcc, 1
	.set _ZN2at6native12_GLOBAL__N_132conv_depthwise2d_backward_kernelILi5ELi2EdiEEvN5torch10headeronly6detail27GenericPackedTensorAccessorINS5_14TensorAccessorIN3c108ArrayRefIlEEKT1_Lm3ENS4_16DefaultPtrTraitsEiEENS_6detail16IndexBoundsCheckILm4EiEESC_Lm4ESD_iEENS6_INS7_ISA_SB_Lm3ESD_iEESH_SB_Lm4ESD_iEESI_T2_iiiiiiiiiiiiiii.uses_flat_scratch, 0
	.set _ZN2at6native12_GLOBAL__N_132conv_depthwise2d_backward_kernelILi5ELi2EdiEEvN5torch10headeronly6detail27GenericPackedTensorAccessorINS5_14TensorAccessorIN3c108ArrayRefIlEEKT1_Lm3ENS4_16DefaultPtrTraitsEiEENS_6detail16IndexBoundsCheckILm4EiEESC_Lm4ESD_iEENS6_INS7_ISA_SB_Lm3ESD_iEESH_SB_Lm4ESD_iEESI_T2_iiiiiiiiiiiiiii.has_dyn_sized_stack, 0
	.set _ZN2at6native12_GLOBAL__N_132conv_depthwise2d_backward_kernelILi5ELi2EdiEEvN5torch10headeronly6detail27GenericPackedTensorAccessorINS5_14TensorAccessorIN3c108ArrayRefIlEEKT1_Lm3ENS4_16DefaultPtrTraitsEiEENS_6detail16IndexBoundsCheckILm4EiEESC_Lm4ESD_iEENS6_INS7_ISA_SB_Lm3ESD_iEESH_SB_Lm4ESD_iEESI_T2_iiiiiiiiiiiiiii.has_recursion, 0
	.set _ZN2at6native12_GLOBAL__N_132conv_depthwise2d_backward_kernelILi5ELi2EdiEEvN5torch10headeronly6detail27GenericPackedTensorAccessorINS5_14TensorAccessorIN3c108ArrayRefIlEEKT1_Lm3ENS4_16DefaultPtrTraitsEiEENS_6detail16IndexBoundsCheckILm4EiEESC_Lm4ESD_iEENS6_INS7_ISA_SB_Lm3ESD_iEESH_SB_Lm4ESD_iEESI_T2_iiiiiiiiiiiiiii.has_indirect_call, 0
	.section	.AMDGPU.csdata,"",@progbits
; Kernel info:
; codeLenInByte = 4460
; TotalNumSgprs: 94
; NumVgprs: 39
; ScratchSize: 0
; MemoryBound: 0
; FloatMode: 240
; IeeeMode: 1
; LDSByteSize: 0 bytes/workgroup (compile time only)
; SGPRBlocks: 11
; VGPRBlocks: 9
; NumSGPRsForWavesPerEU: 94
; NumVGPRsForWavesPerEU: 39
; Occupancy: 6
; WaveLimiterHint : 0
; COMPUTE_PGM_RSRC2:SCRATCH_EN: 0
; COMPUTE_PGM_RSRC2:USER_SGPR: 6
; COMPUTE_PGM_RSRC2:TRAP_HANDLER: 0
; COMPUTE_PGM_RSRC2:TGID_X_EN: 1
; COMPUTE_PGM_RSRC2:TGID_Y_EN: 0
; COMPUTE_PGM_RSRC2:TGID_Z_EN: 0
; COMPUTE_PGM_RSRC2:TIDIG_COMP_CNT: 0
	.section	.text._ZN2at6native12_GLOBAL__N_132conv_depthwise2d_backward_kernelILi5ELi0EdiEEvN5torch10headeronly6detail27GenericPackedTensorAccessorINS5_14TensorAccessorIN3c108ArrayRefIlEEKT1_Lm3ENS4_16DefaultPtrTraitsEiEENS_6detail16IndexBoundsCheckILm4EiEESC_Lm4ESD_iEENS6_INS7_ISA_SB_Lm3ESD_iEESH_SB_Lm4ESD_iEESI_T2_iiiiiiiiiiiiiii,"axG",@progbits,_ZN2at6native12_GLOBAL__N_132conv_depthwise2d_backward_kernelILi5ELi0EdiEEvN5torch10headeronly6detail27GenericPackedTensorAccessorINS5_14TensorAccessorIN3c108ArrayRefIlEEKT1_Lm3ENS4_16DefaultPtrTraitsEiEENS_6detail16IndexBoundsCheckILm4EiEESC_Lm4ESD_iEENS6_INS7_ISA_SB_Lm3ESD_iEESH_SB_Lm4ESD_iEESI_T2_iiiiiiiiiiiiiii,comdat
	.globl	_ZN2at6native12_GLOBAL__N_132conv_depthwise2d_backward_kernelILi5ELi0EdiEEvN5torch10headeronly6detail27GenericPackedTensorAccessorINS5_14TensorAccessorIN3c108ArrayRefIlEEKT1_Lm3ENS4_16DefaultPtrTraitsEiEENS_6detail16IndexBoundsCheckILm4EiEESC_Lm4ESD_iEENS6_INS7_ISA_SB_Lm3ESD_iEESH_SB_Lm4ESD_iEESI_T2_iiiiiiiiiiiiiii ; -- Begin function _ZN2at6native12_GLOBAL__N_132conv_depthwise2d_backward_kernelILi5ELi0EdiEEvN5torch10headeronly6detail27GenericPackedTensorAccessorINS5_14TensorAccessorIN3c108ArrayRefIlEEKT1_Lm3ENS4_16DefaultPtrTraitsEiEENS_6detail16IndexBoundsCheckILm4EiEESC_Lm4ESD_iEENS6_INS7_ISA_SB_Lm3ESD_iEESH_SB_Lm4ESD_iEESI_T2_iiiiiiiiiiiiiii
	.p2align	8
	.type	_ZN2at6native12_GLOBAL__N_132conv_depthwise2d_backward_kernelILi5ELi0EdiEEvN5torch10headeronly6detail27GenericPackedTensorAccessorINS5_14TensorAccessorIN3c108ArrayRefIlEEKT1_Lm3ENS4_16DefaultPtrTraitsEiEENS_6detail16IndexBoundsCheckILm4EiEESC_Lm4ESD_iEENS6_INS7_ISA_SB_Lm3ESD_iEESH_SB_Lm4ESD_iEESI_T2_iiiiiiiiiiiiiii,@function
_ZN2at6native12_GLOBAL__N_132conv_depthwise2d_backward_kernelILi5ELi0EdiEEvN5torch10headeronly6detail27GenericPackedTensorAccessorINS5_14TensorAccessorIN3c108ArrayRefIlEEKT1_Lm3ENS4_16DefaultPtrTraitsEiEENS_6detail16IndexBoundsCheckILm4EiEESC_Lm4ESD_iEENS6_INS7_ISA_SB_Lm3ESD_iEESH_SB_Lm4ESD_iEESI_T2_iiiiiiiiiiiiiii: ; @_ZN2at6native12_GLOBAL__N_132conv_depthwise2d_backward_kernelILi5ELi0EdiEEvN5torch10headeronly6detail27GenericPackedTensorAccessorINS5_14TensorAccessorIN3c108ArrayRefIlEEKT1_Lm3ENS4_16DefaultPtrTraitsEiEENS_6detail16IndexBoundsCheckILm4EiEESC_Lm4ESD_iEENS6_INS7_ISA_SB_Lm3ESD_iEESH_SB_Lm4ESD_iEESI_T2_iiiiiiiiiiiiiii
; %bb.0:
	s_load_dword s2, s[4:5], 0xc4
	s_load_dwordx16 s[56:71], s[4:5], 0x78
	s_add_u32 s0, s4, 0xb8
	s_addc_u32 s1, s5, 0
	v_mov_b32_e32 v1, 0
	s_waitcnt lgkmcnt(0)
	s_and_b32 s2, s2, 0xffff
	v_mov_b32_e32 v2, s6
	v_mad_u64_u32 v[0:1], s[6:7], s2, v2, v[0:1]
	s_ashr_i32 s7, s56, 31
	s_mov_b32 s6, s56
                                        ; implicit-def: $vgpr44 : SGPR spill to VGPR lane
	v_writelane_b32 v44, s6, 0
	v_cmp_gt_i64_e32 vcc, s[6:7], v[0:1]
	v_writelane_b32 v44, s7, 1
	s_and_saveexec_b64 s[6:7], vcc
	s_cbranch_execz .LBB18_205
; %bb.1:
	s_cmp_gt_i32 s58, 0
	s_load_dword s3, s[0:1], 0x0
	s_cselect_b64 s[0:1], -1, 0
	s_abs_i32 s85, s60
	v_cvt_f32_u32_e32 v2, s85
	s_load_dwordx2 s[74:75], s[4:5], 0x0
	s_load_dwordx2 s[6:7], s[4:5], 0x28
	;; [unrolled: 1-line block ×3, first 2 shown]
                                        ; kill: killed $sgpr4 killed $sgpr5
	s_abs_i32 s4, s61
	v_rcp_iflag_f32_e32 v2, v2
	v_cvt_f32_u32_e32 v3, s4
	s_waitcnt lgkmcnt(0)
	v_writelane_b32 v44, s6, 2
	v_writelane_b32 v44, s7, 3
	v_mul_f32_e32 v2, 0x4f7ffffe, v2
	v_cvt_u32_f32_e32 v2, v2
	v_rcp_iflag_f32_e32 v3, v3
	s_mul_i32 s2, s3, s2
	v_writelane_b32 v44, s2, 4
	s_ashr_i32 s2, s60, 31
	v_writelane_b32 v44, s2, 5
	s_sub_i32 s2, 0, s85
	s_abs_i32 s3, s57
	v_mul_lo_u32 v4, s2, v2
	v_mul_f32_e32 v3, 0x4f7ffffe, v3
	v_cvt_f32_u32_e32 v5, s3
	v_cvt_u32_f32_e32 v3, v3
	v_mul_hi_u32 v4, v2, v4
	s_sub_i32 s2, 0, s4
	v_rcp_iflag_f32_e32 v5, v5
	v_mul_lo_u32 v7, s2, v3
	s_abs_i32 s56, s67
	v_add_u32_e32 v6, v2, v4
	v_mul_f32_e32 v4, 0x4f7ffffe, v5
	v_cvt_f32_u32_e32 v5, s56
	s_abs_i32 s33, s66
	v_mul_hi_u32 v2, v3, v7
	v_cvt_f32_u32_e32 v8, s33
	v_rcp_iflag_f32_e32 v5, v5
	v_cvt_u32_f32_e32 v4, v4
	v_add_u32_e32 v7, v3, v2
	v_rcp_iflag_f32_e32 v2, v8
	v_writelane_b32 v44, s4, 6
	s_ashr_i32 s2, s61, 31
	v_mul_f32_e32 v5, 0x4f7ffffe, v5
	v_writelane_b32 v44, s2, 7
	s_sub_i32 s2, 0, s3
	v_cvt_u32_f32_e32 v5, v5
	v_mul_f32_e32 v2, 0x4f7ffffe, v2
	v_mul_lo_u32 v9, s2, v4
	v_cvt_u32_f32_e32 v2, v2
	s_sub_i32 s2, 0, s56
	v_mul_lo_u32 v8, s2, v5
	s_sub_i32 s2, 0, s33
	v_mul_hi_u32 v3, v4, v9
	v_mul_lo_u32 v9, s2, v2
	v_mul_hi_u32 v10, v5, v8
	v_writelane_b32 v44, s3, 8
	v_add_u32_e32 v8, v4, v3
	v_mul_hi_u32 v3, v2, v9
	s_ashr_i32 s2, s57, 31
	v_writelane_b32 v44, s2, 9
	s_ashr_i32 s2, s67, 31
	v_writelane_b32 v44, s2, 10
	v_add_u32_e32 v9, v5, v10
	s_ashr_i32 s2, s66, 31
	v_add_u32_e32 v10, v2, v3
	v_cndmask_b32_e64 v2, 0, 1, s[0:1]
	v_writelane_b32 v44, s2, 11
	v_cmp_ne_u32_e64 s[0:1], 1, v2
	s_mul_i32 s82, s65, s64
	s_mov_b64 s[64:65], 0
	v_writelane_b32 v44, s0, 12
	v_writelane_b32 v44, s1, 13
	s_branch .LBB18_4
.LBB18_2:                               ;   in Loop: Header=BB18_4 Depth=1
	v_mov_b32_e32 v4, 0
	v_mov_b32_e32 v5, 0
.LBB18_3:                               ;   in Loop: Header=BB18_4 Depth=1
	v_readlane_b32 s0, v44, 4
	v_lshlrev_b64 v[2:3], 3, v[0:1]
	v_add_co_u32_e32 v0, vcc, s0, v0
	v_readlane_b32 s0, v44, 0
	v_readlane_b32 s2, v44, 2
	v_addc_co_u32_e32 v1, vcc, 0, v1, vcc
	v_readlane_b32 s1, v44, 1
	v_readlane_b32 s3, v44, 3
	v_cmp_le_i64_e32 vcc, s[0:1], v[0:1]
	v_mov_b32_e32 v11, s3
	v_add_co_u32_e64 v2, s[2:3], s2, v2
	v_addc_co_u32_e64 v3, s[2:3], v11, v3, s[2:3]
	s_or_b64 s[64:65], vcc, s[64:65]
	global_store_dwordx2 v[2:3], v[4:5], off
	s_andn2_b64 exec, exec, s[64:65]
	s_cbranch_execz .LBB18_205
.LBB18_4:                               ; =>This Loop Header: Depth=1
                                        ;     Child Loop BB18_9 Depth 2
	v_readlane_b32 s0, v44, 12
	v_readlane_b32 s1, v44, 13
	s_and_b64 vcc, exec, s[0:1]
	s_cbranch_vccnz .LBB18_2
; %bb.5:                                ;   in Loop: Header=BB18_4 Depth=1
	v_sub_u32_e32 v3, 0, v0
	v_max_i32_e32 v3, v0, v3
	v_mul_hi_u32 v4, v3, v6
	v_ashrrev_i32_e32 v2, 31, v0
	v_readlane_b32 s0, v44, 5
	v_xor_b32_e32 v2, s0, v2
	v_mul_lo_u32 v5, v4, s85
	v_readlane_b32 s0, v44, 7
	v_add_u32_e32 v17, s68, v0
	v_readlane_b32 s28, v44, 11
	v_sub_u32_e32 v3, v3, v5
	v_cmp_le_u32_e32 vcc, s85, v3
	v_add_u32_e32 v5, 1, v4
	v_cndmask_b32_e32 v4, v4, v5, vcc
	v_subrev_u32_e32 v5, s85, v3
	v_cndmask_b32_e32 v3, v3, v5, vcc
	v_cmp_le_u32_e32 vcc, s85, v3
	v_add_u32_e32 v3, 1, v4
	v_cndmask_b32_e32 v3, v4, v3, vcc
	v_xor_b32_e32 v3, v3, v2
	v_sub_u32_e32 v2, v3, v2
	v_sub_u32_e32 v4, 0, v2
	v_max_i32_e32 v4, v2, v4
	v_mul_hi_u32 v5, v4, v7
	v_ashrrev_i32_e32 v3, 31, v2
	v_xor_b32_e32 v3, s0, v3
	v_readlane_b32 s0, v44, 6
	v_mul_lo_u32 v11, v5, s0
	v_add_u32_e32 v18, s69, v2
	v_mul_lo_u32 v2, v2, s60
	s_mov_b32 s83, 0
	v_sub_u32_e32 v4, v4, v11
	v_cmp_le_u32_e32 vcc, s0, v4
	v_add_u32_e32 v11, 1, v5
	v_cndmask_b32_e32 v5, v5, v11, vcc
	v_subrev_u32_e32 v11, s0, v4
	v_cndmask_b32_e32 v4, v4, v11, vcc
	v_cmp_le_u32_e32 vcc, s0, v4
	v_add_u32_e32 v4, 1, v5
	v_cndmask_b32_e32 v4, v5, v4, vcc
	v_xor_b32_e32 v4, v4, v3
	v_sub_u32_e32 v3, v4, v3
	v_sub_u32_e32 v5, 0, v3
	v_max_i32_e32 v5, v3, v5
	v_mul_hi_u32 v11, v5, v8
	v_ashrrev_i32_e32 v4, 31, v3
	v_readlane_b32 s0, v44, 9
	v_xor_b32_e32 v4, s0, v4
	v_readlane_b32 s0, v44, 8
	v_mul_lo_u32 v12, v11, s0
	v_mul_lo_u32 v16, v3, s61
	v_sub_u32_e32 v15, v17, v2
	v_add_u32_e32 v2, s70, v2
	v_sub_u32_e32 v5, v5, v12
	v_cmp_le_u32_e32 vcc, s0, v5
	v_add_u32_e32 v12, 1, v11
	v_cndmask_b32_e32 v11, v11, v12, vcc
	v_subrev_u32_e32 v12, s0, v5
	v_cndmask_b32_e32 v5, v5, v12, vcc
	v_cmp_le_u32_e32 vcc, s0, v5
	v_add_u32_e32 v5, 1, v11
	v_cndmask_b32_e32 v5, v11, v5, vcc
	v_xor_b32_e32 v5, v5, v4
	v_sub_u32_e32 v4, v5, v4
	v_mul_lo_u32 v5, v4, s57
	v_sub_u32_e32 v12, v18, v16
	v_readlane_b32 s0, v44, 10
	v_add_u32_e32 v16, s71, v16
	v_sub_u32_e32 v11, v3, v5
	v_sub_u32_e32 v5, 0, v12
	v_max_i32_e32 v5, v12, v5
	v_mul_hi_u32 v13, v5, v9
	v_mul_lo_u32 v3, v4, s59
	v_ashrrev_i32_e32 v4, 31, v12
	v_xor_b32_e32 v4, s0, v4
	v_mul_lo_u32 v14, v13, s56
	s_mov_b32 s84, s58
	v_sub_u32_e32 v5, v5, v14
	v_cmp_le_u32_e32 vcc, s56, v5
	v_add_u32_e32 v14, 1, v13
	v_cndmask_b32_e32 v13, v13, v14, vcc
	v_subrev_u32_e32 v14, s56, v5
	v_cndmask_b32_e32 v5, v5, v14, vcc
	v_cmp_le_u32_e32 vcc, s56, v5
	v_add_u32_e32 v5, 1, v13
	v_cndmask_b32_e32 v5, v13, v5, vcc
	v_xor_b32_e32 v5, v5, v4
	v_sub_u32_e32 v28, v5, v4
	v_mul_lo_u32 v13, v28, s67
	v_sub_u32_e32 v14, v17, v2
	v_add_u32_e32 v2, s70, v2
	v_cmp_lt_i32_e64 s[12:13], -1, v28
	v_sub_u32_e32 v12, v12, v13
	v_sub_u32_e32 v13, v17, v2
	v_add_u32_e32 v2, s70, v2
	v_cmp_eq_u32_e32 vcc, 0, v12
	v_sub_u32_e32 v12, v17, v2
	v_add_u32_e32 v2, s70, v2
	v_sub_u32_e32 v2, v17, v2
	v_sub_u32_e32 v17, v18, v16
	v_ashrrev_i32_e32 v19, 31, v17
	v_xor_b32_e32 v26, s0, v19
	v_sub_u32_e32 v19, 0, v17
	v_max_i32_e32 v19, v17, v19
	v_mul_hi_u32 v20, v19, v9
	v_add_u32_e32 v16, s71, v16
	v_cmp_gt_i32_e64 s[22:23], s63, v28
	v_mul_lo_u32 v21, v20, s56
	v_sub_u32_e32 v19, v19, v21
	v_cmp_le_u32_e64 s[2:3], s56, v19
	v_add_u32_e32 v21, 1, v20
	v_cndmask_b32_e64 v20, v20, v21, s[2:3]
	v_subrev_u32_e32 v21, s56, v19
	v_cndmask_b32_e64 v19, v19, v21, s[2:3]
	v_cmp_le_u32_e64 s[2:3], s56, v19
	v_add_u32_e32 v19, 1, v20
	v_cndmask_b32_e64 v19, v20, v19, s[2:3]
	v_xor_b32_e32 v27, v19, v26
	v_sub_u32_e32 v20, v27, v26
	v_mul_lo_u32 v19, v20, s67
	v_sub_u32_e32 v17, v17, v19
	v_cmp_eq_u32_e64 s[2:3], 0, v17
	v_sub_u32_e32 v17, v18, v16
	v_ashrrev_i32_e32 v19, 31, v17
	v_xor_b32_e32 v21, s0, v19
	v_sub_u32_e32 v19, 0, v17
	v_max_i32_e32 v19, v17, v19
	v_mul_hi_u32 v22, v19, v9
	v_mul_lo_u32 v23, v22, s56
	v_sub_u32_e32 v19, v19, v23
	v_cmp_le_u32_e64 s[4:5], s56, v19
	v_add_u32_e32 v23, 1, v22
	v_cndmask_b32_e64 v22, v22, v23, s[4:5]
	v_subrev_u32_e32 v23, s56, v19
	v_cndmask_b32_e64 v19, v19, v23, s[4:5]
	v_cmp_le_u32_e64 s[4:5], s56, v19
	v_add_u32_e32 v19, 1, v22
	v_cndmask_b32_e64 v19, v22, v19, s[4:5]
	v_xor_b32_e32 v22, v19, v21
	v_sub_u32_e32 v23, v22, v21
	v_mul_lo_u32 v19, v23, s67
	v_sub_u32_e32 v17, v17, v19
	v_add_u32_e32 v19, s71, v16
	v_sub_u32_e32 v25, v18, v19
	v_cmp_eq_u32_e64 s[4:5], 0, v17
	v_sub_u32_e32 v17, 0, v25
	v_max_i32_e32 v17, v25, v17
	v_mul_hi_u32 v24, v17, v9
	v_ashrrev_i32_e32 v16, 31, v25
	v_xor_b32_e32 v16, s0, v16
	v_add_u32_e32 v19, s71, v19
	v_mul_lo_u32 v29, v24, s56
	v_sub_u32_e32 v17, v17, v29
	v_cmp_le_u32_e64 s[6:7], s56, v17
	v_add_u32_e32 v29, 1, v24
	v_cndmask_b32_e64 v24, v24, v29, s[6:7]
	v_subrev_u32_e32 v29, s56, v17
	v_cndmask_b32_e64 v17, v17, v29, s[6:7]
	v_cmp_le_u32_e64 s[6:7], s56, v17
	v_add_u32_e32 v17, 1, v24
	v_cndmask_b32_e64 v17, v24, v17, s[6:7]
	v_xor_b32_e32 v17, v17, v16
	v_sub_u32_e32 v24, v17, v16
	v_mul_lo_u32 v29, v24, s67
	v_sub_u32_e32 v25, v25, v29
	v_sub_u32_e32 v29, v18, v19
	;; [unrolled: 1-line block ×3, first 2 shown]
	v_max_i32_e32 v19, v29, v19
	v_cmp_eq_u32_e64 s[6:7], 0, v25
	v_mul_hi_u32 v25, v19, v9
	v_ashrrev_i32_e32 v18, 31, v29
	v_xor_b32_e32 v18, s0, v18
	v_mul_lo_u32 v30, v25, s56
	v_sub_u32_e32 v19, v19, v30
	v_cmp_le_u32_e64 s[8:9], s56, v19
	v_add_u32_e32 v30, 1, v25
	v_cndmask_b32_e64 v25, v25, v30, s[8:9]
	v_subrev_u32_e32 v30, s56, v19
	v_cndmask_b32_e64 v19, v19, v30, s[8:9]
	v_cmp_le_u32_e64 s[8:9], s56, v19
	v_add_u32_e32 v19, 1, v25
	v_cndmask_b32_e64 v19, v25, v19, s[8:9]
	v_xor_b32_e32 v19, v19, v18
	v_sub_u32_e32 v25, v19, v18
	v_mul_lo_u32 v30, v25, s67
	v_sub_u32_e32 v29, v29, v30
	v_sub_u32_e32 v30, 0, v15
	v_max_i32_e32 v30, v15, v30
	v_mul_hi_u32 v31, v30, v10
	v_cmp_eq_u32_e64 s[8:9], 0, v29
	v_ashrrev_i32_e32 v29, 31, v15
	v_xor_b32_e32 v35, s28, v29
	v_mul_lo_u32 v32, v31, s33
	v_add_u32_e32 v28, 1, v31
	v_sub_u32_e32 v30, v30, v32
	v_cmp_le_u32_e64 s[14:15], s33, v30
	v_subrev_u32_e32 v32, s33, v30
	v_cndmask_b32_e64 v30, v30, v32, s[14:15]
	v_subrev_u32_e32 v32, s33, v30
	v_cmp_le_u32_e64 s[16:17], s33, v30
	v_cndmask_b32_e64 v30, v30, v32, s[16:17]
	v_xor_b32_e32 v30, v30, v29
	v_sub_u32_e32 v30, v30, v29
	v_cmp_eq_u32_e64 s[10:11], 0, v30
	v_sub_u32_e32 v30, 0, v14
	v_max_i32_e32 v30, v14, v30
	v_cndmask_b32_e64 v28, v31, v28, s[14:15]
	v_mul_hi_u32 v31, v30, v10
	v_add_u32_e32 v29, 1, v28
	v_cndmask_b32_e64 v28, v28, v29, s[16:17]
	v_ashrrev_i32_e32 v29, 31, v14
	v_mul_lo_u32 v32, v31, s33
	v_xor_b32_e32 v34, s28, v29
	v_xor_b32_e32 v36, v28, v35
	v_sub_u32_e32 v28, v36, v35
	v_sub_u32_e32 v30, v30, v32
	v_cmp_le_u32_e64 s[16:17], s33, v30
	v_subrev_u32_e32 v32, s33, v30
	v_cndmask_b32_e64 v30, v30, v32, s[16:17]
	v_subrev_u32_e32 v32, s33, v30
	v_cmp_le_u32_e64 s[18:19], s33, v30
	v_cndmask_b32_e64 v30, v30, v32, s[18:19]
	v_xor_b32_e32 v30, v30, v29
	v_sub_u32_e32 v30, v30, v29
	v_add_u32_e32 v29, 1, v31
	v_cndmask_b32_e64 v29, v31, v29, s[16:17]
	v_sub_u32_e32 v31, 0, v13
	v_max_i32_e32 v31, v13, v31
	v_mul_hi_u32 v32, v31, v10
	v_cmp_lt_i32_e64 s[34:35], -1, v28
	v_cmp_gt_i32_e64 s[36:37], s62, v28
	s_and_b64 s[0:1], s[34:35], s[36:37]
	v_mul_lo_u32 v33, v32, s33
	s_and_b64 s[14:15], s[22:23], s[0:1]
	v_writelane_b32 v44, s14, 14
	v_writelane_b32 v44, s15, 15
	v_cmp_eq_u32_e64 s[14:15], 0, v30
	v_add_u32_e32 v30, 1, v29
	v_sub_u32_e32 v31, v31, v33
	v_cndmask_b32_e64 v29, v29, v30, s[18:19]
	v_cmp_le_u32_e64 s[18:19], s33, v31
	v_subrev_u32_e32 v33, s33, v31
	v_cndmask_b32_e64 v31, v31, v33, s[18:19]
	v_subrev_u32_e32 v33, s33, v31
	v_cmp_le_u32_e64 s[20:21], s33, v31
	v_ashrrev_i32_e32 v30, 31, v13
	v_cndmask_b32_e64 v31, v31, v33, s[20:21]
	v_xor_b32_e32 v31, v31, v30
	v_sub_u32_e32 v31, v31, v30
	v_xor_b32_e32 v33, s28, v30
	v_add_u32_e32 v30, 1, v32
	v_cndmask_b32_e64 v30, v32, v30, s[18:19]
	v_sub_u32_e32 v32, 0, v12
	v_max_i32_e32 v32, v12, v32
	v_mul_hi_u32 v39, v32, v10
	v_xor_b32_e32 v37, v29, v34
	v_sub_u32_e32 v29, v37, v34
	v_cmp_lt_i32_e64 s[38:39], -1, v29
	v_cmp_gt_i32_e64 s[40:41], s62, v29
	v_mul_lo_u32 v40, v39, s33
	s_and_b64 s[30:31], s[38:39], s[40:41]
	s_and_b64 s[16:17], s[22:23], s[30:31]
	v_writelane_b32 v44, s16, 16
	v_writelane_b32 v44, s17, 17
	v_cmp_eq_u32_e64 s[16:17], 0, v31
	v_add_u32_e32 v31, 1, v30
	v_sub_u32_e32 v32, v32, v40
	v_cndmask_b32_e64 v30, v30, v31, s[20:21]
	v_cmp_le_u32_e64 s[20:21], s33, v32
	v_subrev_u32_e32 v40, s33, v32
	v_cndmask_b32_e64 v32, v32, v40, s[20:21]
	v_subrev_u32_e32 v40, s33, v32
	v_cmp_le_u32_e64 s[24:25], s33, v32
	v_cndmask_b32_e64 v32, v32, v40, s[24:25]
	v_sub_u32_e32 v40, 0, v2
	v_xor_b32_e32 v38, v30, v33
	v_max_i32_e32 v40, v2, v40
	v_sub_u32_e32 v30, v38, v33
	v_mul_hi_u32 v42, v40, v10
	v_cmp_lt_i32_e64 s[42:43], -1, v30
	v_cmp_gt_i32_e64 s[44:45], s62, v30
	s_and_b64 s[54:55], s[42:43], s[44:45]
	v_ashrrev_i32_e32 v31, 31, v12
	s_and_b64 s[18:19], s[22:23], s[54:55]
	v_xor_b32_e32 v32, v32, v31
	v_writelane_b32 v44, s18, 18
	v_sub_u32_e32 v32, v32, v31
	v_mul_lo_u32 v43, v42, s33
	v_writelane_b32 v44, s19, 19
	v_cmp_eq_u32_e64 s[18:19], 0, v32
	v_xor_b32_e32 v32, s28, v31
	v_add_u32_e32 v31, 1, v39
	v_cndmask_b32_e64 v31, v39, v31, s[20:21]
	v_add_u32_e32 v39, 1, v31
	v_cndmask_b32_e64 v31, v31, v39, s[24:25]
	v_sub_u32_e32 v40, v40, v43
	v_xor_b32_e32 v39, v31, v32
	v_cmp_le_u32_e64 s[24:25], s33, v40
	v_subrev_u32_e32 v43, s33, v40
	v_sub_u32_e32 v41, v39, v32
	v_cndmask_b32_e64 v40, v40, v43, s[24:25]
	v_cmp_lt_i32_e64 s[46:47], -1, v41
	v_cmp_gt_i32_e64 s[48:49], s62, v41
	v_subrev_u32_e32 v43, s33, v40
	v_cmp_le_u32_e64 s[26:27], s33, v40
	s_and_b64 s[72:73], s[46:47], s[48:49]
	v_ashrrev_i32_e32 v31, 31, v2
	v_cndmask_b32_e64 v40, v40, v43, s[26:27]
	s_and_b64 s[20:21], s[22:23], s[72:73]
	v_xor_b32_e32 v40, v40, v31
	v_writelane_b32 v44, s20, 20
	v_sub_u32_e32 v40, v40, v31
	v_writelane_b32 v44, s21, 21
	v_cmp_eq_u32_e64 s[20:21], 0, v40
	v_add_u32_e32 v40, 1, v42
	v_cndmask_b32_e64 v40, v42, v40, s[24:25]
	v_add_u32_e32 v42, 1, v40
	v_xor_b32_e32 v31, s28, v31
	v_cndmask_b32_e64 v40, v40, v42, s[26:27]
	v_xor_b32_e32 v40, v40, v31
	v_sub_u32_e32 v42, v40, v31
	v_cmp_lt_i32_e64 s[50:51], -1, v42
	v_cmp_gt_i32_e64 s[52:53], s62, v42
	s_and_b64 s[76:77], s[50:51], s[52:53]
	s_and_b64 s[22:23], s[22:23], s[76:77]
	v_writelane_b32 v44, s22, 22
	v_cmp_gt_i32_e64 s[24:25], s63, v20
	v_writelane_b32 v44, s23, 23
	s_and_b64 s[26:27], s[24:25], s[0:1]
	v_writelane_b32 v44, s26, 24
	v_writelane_b32 v44, s27, 25
	s_and_b64 s[26:27], s[24:25], s[30:31]
	v_writelane_b32 v44, s26, 26
	;; [unrolled: 3-line block ×5, first 2 shown]
	v_cmp_gt_i32_e64 s[26:27], s63, v23
	v_writelane_b32 v44, s25, 33
	s_and_b64 s[28:29], s[26:27], s[0:1]
	v_writelane_b32 v44, s28, 34
	v_writelane_b32 v44, s29, 35
	s_and_b64 s[28:29], s[26:27], s[30:31]
	v_writelane_b32 v44, s28, 36
	v_cmp_lt_i32_e64 s[22:23], -1, v20
	v_writelane_b32 v44, s29, 37
	s_and_b64 s[28:29], s[26:27], s[54:55]
	v_mul_lo_u32 v20, v28, s66
	v_writelane_b32 v44, s28, 38
	v_writelane_b32 v44, s29, 39
	s_and_b64 s[28:29], s[26:27], s[72:73]
	v_writelane_b32 v44, s28, 40
	v_writelane_b32 v44, s29, 41
	v_cmp_gt_i32_e64 s[28:29], s63, v24
	v_sub_u32_e32 v15, v15, v20
	s_and_b64 s[88:89], s[28:29], s[0:1]
	s_and_b64 s[90:91], s[28:29], s[30:31]
	;; [unrolled: 1-line block ×5, first 2 shown]
	v_cmp_eq_u32_e64 s[28:29], 0, v15
	v_mul_lo_u32 v15, v29, s66
	v_cmp_gt_i32_e64 s[54:55], s63, v25
	s_and_b64 s[36:37], s[36:37], s[54:55]
	s_and_b64 s[72:73], s[36:37], s[34:35]
	v_sub_u32_e32 v14, v14, v15
	v_cmp_eq_u32_e64 s[34:35], 0, v14
	v_mul_lo_u32 v14, v30, s66
	s_and_b64 s[36:37], s[40:41], s[54:55]
	s_and_b64 s[86:87], s[26:27], s[76:77]
	;; [unrolled: 1-line block ×3, first 2 shown]
	v_sub_u32_e32 v13, v13, v14
	v_cmp_eq_u32_e64 s[36:37], 0, v13
	v_mul_lo_u32 v13, v41, s66
	s_and_b64 s[38:39], s[44:45], s[54:55]
	s_and_b64 s[42:43], s[38:39], s[42:43]
	;; [unrolled: 1-line block ×3, first 2 shown]
	v_sub_u32_e32 v12, v12, v13
	v_cmp_eq_u32_e64 s[38:39], 0, v12
	v_mul_lo_u32 v12, v42, s66
	v_cmp_lt_i32_e64 s[30:31], -1, v25
	s_and_b64 s[44:45], s[40:41], s[46:47]
	v_cmp_lt_i32_e64 s[24:25], -1, v23
	v_sub_u32_e32 v2, v2, v12
	v_cmp_eq_u32_e64 s[40:41], 0, v2
	s_and_b64 s[46:47], s[40:41], s[30:31]
	s_and_b64 s[40:41], s[52:53], s[54:55]
	;; [unrolled: 1-line block ×3, first 2 shown]
	s_mul_i32 s40, s82, s58
	v_mul_lo_u32 v2, s40, v11
	v_mad_u64_u32 v[11:12], s[40:41], v11, s58, v[3:4]
	v_cmp_lt_i32_e64 s[26:27], -1, v24
	v_mul_lo_u32 v3, s63, v11
	v_add_u32_e32 v11, v19, v3
	v_add_u32_e32 v17, v17, v3
	;; [unrolled: 1-line block ×5, first 2 shown]
	v_sub_u32_e32 v11, v11, v18
	v_sub_u32_e32 v16, v17, v16
	;; [unrolled: 1-line block ×5, first 2 shown]
	v_mul_lo_u32 v15, s62, v11
	v_mul_lo_u32 v20, s62, v16
	;; [unrolled: 1-line block ×5, first 2 shown]
	v_add_u32_e32 v11, v40, v15
	v_add_u32_e32 v16, v40, v20
	;; [unrolled: 1-line block ×5, first 2 shown]
	v_sub_u32_e32 v11, v11, v31
	v_add_u32_e32 v12, v39, v15
	v_sub_u32_e32 v16, v16, v31
	v_add_u32_e32 v17, v39, v20
	;; [unrolled: 2-line block ×20, first 2 shown]
	v_mov_b32_e32 v4, 0
	v_sub_u32_e32 v15, v15, v35
	v_sub_u32_e32 v20, v20, v35
	;; [unrolled: 1-line block ×5, first 2 shown]
	v_mov_b32_e32 v5, 0
	s_branch .LBB18_9
.LBB18_6:                               ;   in Loop: Header=BB18_9 Depth=2
	s_or_b64 exec, exec, s[54:55]
.LBB18_7:                               ;   in Loop: Header=BB18_9 Depth=2
	s_or_b64 exec, exec, s[52:53]
.LBB18_8:                               ;   in Loop: Header=BB18_9 Depth=2
	s_or_b64 exec, exec, s[50:51]
	s_mul_i32 s40, s63, s62
	s_add_i32 s84, s84, -1
	s_add_i32 s83, s83, s40
	s_cmp_eq_u32 s84, 0
	v_add_u32_e32 v2, s82, v2
	s_cbranch_scc1 .LBB18_3
.LBB18_9:                               ;   Parent Loop BB18_4 Depth=1
                                        ; =>  This Inner Loop Header: Depth=2
	s_and_saveexec_b64 s[50:51], vcc
	s_cbranch_execnz .LBB18_34
; %bb.10:                               ;   in Loop: Header=BB18_9 Depth=2
	s_or_b64 exec, exec, s[50:51]
	s_and_saveexec_b64 s[50:51], vcc
	s_cbranch_execnz .LBB18_41
.LBB18_11:                              ;   in Loop: Header=BB18_9 Depth=2
	s_or_b64 exec, exec, s[50:51]
	s_and_saveexec_b64 s[50:51], vcc
	s_cbranch_execnz .LBB18_48
.LBB18_12:                              ;   in Loop: Header=BB18_9 Depth=2
	s_or_b64 exec, exec, s[50:51]
	s_and_saveexec_b64 s[50:51], vcc
	s_cbranch_execnz .LBB18_55
.LBB18_13:                              ;   in Loop: Header=BB18_9 Depth=2
	s_or_b64 exec, exec, s[50:51]
	s_and_saveexec_b64 s[50:51], vcc
	s_cbranch_execnz .LBB18_62
.LBB18_14:                              ;   in Loop: Header=BB18_9 Depth=2
	s_or_b64 exec, exec, s[50:51]
	s_and_saveexec_b64 s[50:51], s[2:3]
	s_cbranch_execnz .LBB18_69
.LBB18_15:                              ;   in Loop: Header=BB18_9 Depth=2
	s_or_b64 exec, exec, s[50:51]
	s_and_saveexec_b64 s[50:51], s[2:3]
	s_cbranch_execnz .LBB18_76
.LBB18_16:                              ;   in Loop: Header=BB18_9 Depth=2
	s_or_b64 exec, exec, s[50:51]
	s_and_saveexec_b64 s[50:51], s[2:3]
	s_cbranch_execnz .LBB18_83
.LBB18_17:                              ;   in Loop: Header=BB18_9 Depth=2
	s_or_b64 exec, exec, s[50:51]
	s_and_saveexec_b64 s[50:51], s[2:3]
	s_cbranch_execnz .LBB18_90
.LBB18_18:                              ;   in Loop: Header=BB18_9 Depth=2
	s_or_b64 exec, exec, s[50:51]
	s_and_saveexec_b64 s[50:51], s[2:3]
	s_cbranch_execnz .LBB18_97
.LBB18_19:                              ;   in Loop: Header=BB18_9 Depth=2
	s_or_b64 exec, exec, s[50:51]
	s_and_saveexec_b64 s[50:51], s[4:5]
	s_cbranch_execnz .LBB18_104
.LBB18_20:                              ;   in Loop: Header=BB18_9 Depth=2
	s_or_b64 exec, exec, s[50:51]
	s_and_saveexec_b64 s[50:51], s[4:5]
	s_cbranch_execnz .LBB18_111
.LBB18_21:                              ;   in Loop: Header=BB18_9 Depth=2
	s_or_b64 exec, exec, s[50:51]
	s_and_saveexec_b64 s[50:51], s[4:5]
	s_cbranch_execnz .LBB18_118
.LBB18_22:                              ;   in Loop: Header=BB18_9 Depth=2
	s_or_b64 exec, exec, s[50:51]
	s_and_saveexec_b64 s[50:51], s[4:5]
	s_cbranch_execnz .LBB18_125
.LBB18_23:                              ;   in Loop: Header=BB18_9 Depth=2
	s_or_b64 exec, exec, s[50:51]
	s_and_saveexec_b64 s[50:51], s[4:5]
	s_cbranch_execnz .LBB18_132
.LBB18_24:                              ;   in Loop: Header=BB18_9 Depth=2
	s_or_b64 exec, exec, s[50:51]
	s_and_saveexec_b64 s[50:51], s[6:7]
	s_cbranch_execnz .LBB18_139
.LBB18_25:                              ;   in Loop: Header=BB18_9 Depth=2
	s_or_b64 exec, exec, s[50:51]
	s_and_saveexec_b64 s[50:51], s[6:7]
	s_cbranch_execnz .LBB18_146
.LBB18_26:                              ;   in Loop: Header=BB18_9 Depth=2
	s_or_b64 exec, exec, s[50:51]
	s_and_saveexec_b64 s[50:51], s[6:7]
	s_cbranch_execnz .LBB18_153
.LBB18_27:                              ;   in Loop: Header=BB18_9 Depth=2
	s_or_b64 exec, exec, s[50:51]
	s_and_saveexec_b64 s[50:51], s[6:7]
	s_cbranch_execnz .LBB18_160
.LBB18_28:                              ;   in Loop: Header=BB18_9 Depth=2
	s_or_b64 exec, exec, s[50:51]
	s_and_saveexec_b64 s[50:51], s[6:7]
	s_cbranch_execnz .LBB18_167
.LBB18_29:                              ;   in Loop: Header=BB18_9 Depth=2
	s_or_b64 exec, exec, s[50:51]
	s_and_saveexec_b64 s[50:51], s[8:9]
	s_cbranch_execnz .LBB18_174
.LBB18_30:                              ;   in Loop: Header=BB18_9 Depth=2
	s_or_b64 exec, exec, s[50:51]
	s_and_saveexec_b64 s[50:51], s[8:9]
	s_cbranch_execnz .LBB18_181
.LBB18_31:                              ;   in Loop: Header=BB18_9 Depth=2
	s_or_b64 exec, exec, s[50:51]
	s_and_saveexec_b64 s[50:51], s[8:9]
	s_cbranch_execnz .LBB18_188
.LBB18_32:                              ;   in Loop: Header=BB18_9 Depth=2
	s_or_b64 exec, exec, s[50:51]
	s_and_saveexec_b64 s[50:51], s[8:9]
	s_cbranch_execnz .LBB18_195
.LBB18_33:                              ;   in Loop: Header=BB18_9 Depth=2
	s_or_b64 exec, exec, s[50:51]
	s_and_saveexec_b64 s[50:51], s[8:9]
	s_cbranch_execz .LBB18_8
	s_branch .LBB18_202
.LBB18_34:                              ;   in Loop: Header=BB18_9 Depth=2
	s_and_saveexec_b64 s[52:53], s[10:11]
	s_cbranch_execz .LBB18_40
; %bb.35:                               ;   in Loop: Header=BB18_9 Depth=2
	s_and_saveexec_b64 s[54:55], s[12:13]
	s_cbranch_execz .LBB18_39
; %bb.36:                               ;   in Loop: Header=BB18_9 Depth=2
	s_mov_b64 s[80:81], exec
	v_readlane_b32 s40, v44, 14
	v_readlane_b32 s41, v44, 15
	s_and_b64 s[40:41], s[80:81], s[40:41]
	s_mov_b64 exec, s[40:41]
	s_cbranch_execz .LBB18_38
; %bb.37:                               ;   in Loop: Header=BB18_9 Depth=2
	v_ashrrev_i32_e32 v3, 31, v2
	v_lshlrev_b64 v[37:38], 3, v[2:3]
	v_mov_b32_e32 v3, s79
	v_add_co_u32_e64 v37, s[40:41], s78, v37
	v_add_u32_e32 v36, s83, v35
	v_addc_co_u32_e64 v38, s[40:41], v3, v38, s[40:41]
	global_load_dwordx2 v[38:39], v[37:38], off
	v_ashrrev_i32_e32 v37, 31, v36
	v_lshlrev_b64 v[36:37], 3, v[36:37]
	v_mov_b32_e32 v3, s75
	v_add_co_u32_e64 v36, s[40:41], s74, v36
	v_addc_co_u32_e64 v37, s[40:41], v3, v37, s[40:41]
	global_load_dwordx2 v[36:37], v[36:37], off
	s_waitcnt vmcnt(0)
	v_fma_f64 v[4:5], v[38:39], v[36:37], v[4:5]
.LBB18_38:                              ;   in Loop: Header=BB18_9 Depth=2
	s_or_b64 exec, exec, s[80:81]
.LBB18_39:                              ;   in Loop: Header=BB18_9 Depth=2
	s_or_b64 exec, exec, s[54:55]
.LBB18_40:                              ;   in Loop: Header=BB18_9 Depth=2
	s_or_b64 exec, exec, s[52:53]
	s_or_b64 exec, exec, s[50:51]
	s_and_saveexec_b64 s[50:51], vcc
	s_cbranch_execz .LBB18_11
.LBB18_41:                              ;   in Loop: Header=BB18_9 Depth=2
	s_and_saveexec_b64 s[52:53], s[14:15]
	s_cbranch_execz .LBB18_47
; %bb.42:                               ;   in Loop: Header=BB18_9 Depth=2
	s_and_saveexec_b64 s[54:55], s[12:13]
	s_cbranch_execz .LBB18_46
; %bb.43:                               ;   in Loop: Header=BB18_9 Depth=2
	s_mov_b64 s[80:81], exec
	v_readlane_b32 s40, v44, 16
	v_readlane_b32 s41, v44, 17
	s_and_b64 s[40:41], s[80:81], s[40:41]
	s_mov_b64 exec, s[40:41]
	s_cbranch_execz .LBB18_45
; %bb.44:                               ;   in Loop: Header=BB18_9 Depth=2
	v_ashrrev_i32_e32 v3, 31, v2
	v_lshlrev_b64 v[37:38], 3, v[2:3]
	v_mov_b32_e32 v3, s79
	v_add_co_u32_e64 v37, s[40:41], s78, v37
	v_add_u32_e32 v36, s83, v34
	v_addc_co_u32_e64 v38, s[40:41], v3, v38, s[40:41]
	global_load_dwordx2 v[38:39], v[37:38], off offset:8
	v_ashrrev_i32_e32 v37, 31, v36
	v_lshlrev_b64 v[36:37], 3, v[36:37]
	v_mov_b32_e32 v3, s75
	v_add_co_u32_e64 v36, s[40:41], s74, v36
	v_addc_co_u32_e64 v37, s[40:41], v3, v37, s[40:41]
	global_load_dwordx2 v[36:37], v[36:37], off
	s_waitcnt vmcnt(0)
	v_fma_f64 v[4:5], v[38:39], v[36:37], v[4:5]
.LBB18_45:                              ;   in Loop: Header=BB18_9 Depth=2
	s_or_b64 exec, exec, s[80:81]
.LBB18_46:                              ;   in Loop: Header=BB18_9 Depth=2
	s_or_b64 exec, exec, s[54:55]
.LBB18_47:                              ;   in Loop: Header=BB18_9 Depth=2
	s_or_b64 exec, exec, s[52:53]
	s_or_b64 exec, exec, s[50:51]
	s_and_saveexec_b64 s[50:51], vcc
	s_cbranch_execz .LBB18_12
.LBB18_48:                              ;   in Loop: Header=BB18_9 Depth=2
	s_and_saveexec_b64 s[52:53], s[16:17]
	s_cbranch_execz .LBB18_54
; %bb.49:                               ;   in Loop: Header=BB18_9 Depth=2
	s_and_saveexec_b64 s[54:55], s[12:13]
	s_cbranch_execz .LBB18_53
; %bb.50:                               ;   in Loop: Header=BB18_9 Depth=2
	s_mov_b64 s[80:81], exec
	v_readlane_b32 s40, v44, 18
	v_readlane_b32 s41, v44, 19
	s_and_b64 s[40:41], s[80:81], s[40:41]
	s_mov_b64 exec, s[40:41]
	s_cbranch_execz .LBB18_52
; %bb.51:                               ;   in Loop: Header=BB18_9 Depth=2
	v_ashrrev_i32_e32 v3, 31, v2
	v_lshlrev_b64 v[37:38], 3, v[2:3]
	v_mov_b32_e32 v3, s79
	v_add_co_u32_e64 v37, s[40:41], s78, v37
	v_add_u32_e32 v36, s83, v33
	v_addc_co_u32_e64 v38, s[40:41], v3, v38, s[40:41]
	global_load_dwordx2 v[38:39], v[37:38], off offset:16
	v_ashrrev_i32_e32 v37, 31, v36
	v_lshlrev_b64 v[36:37], 3, v[36:37]
	v_mov_b32_e32 v3, s75
	v_add_co_u32_e64 v36, s[40:41], s74, v36
	v_addc_co_u32_e64 v37, s[40:41], v3, v37, s[40:41]
	global_load_dwordx2 v[36:37], v[36:37], off
	s_waitcnt vmcnt(0)
	v_fma_f64 v[4:5], v[38:39], v[36:37], v[4:5]
.LBB18_52:                              ;   in Loop: Header=BB18_9 Depth=2
	s_or_b64 exec, exec, s[80:81]
.LBB18_53:                              ;   in Loop: Header=BB18_9 Depth=2
	s_or_b64 exec, exec, s[54:55]
.LBB18_54:                              ;   in Loop: Header=BB18_9 Depth=2
	s_or_b64 exec, exec, s[52:53]
	s_or_b64 exec, exec, s[50:51]
	s_and_saveexec_b64 s[50:51], vcc
	s_cbranch_execz .LBB18_13
.LBB18_55:                              ;   in Loop: Header=BB18_9 Depth=2
	s_and_saveexec_b64 s[52:53], s[18:19]
	s_cbranch_execz .LBB18_61
; %bb.56:                               ;   in Loop: Header=BB18_9 Depth=2
	s_and_saveexec_b64 s[54:55], s[12:13]
	s_cbranch_execz .LBB18_60
; %bb.57:                               ;   in Loop: Header=BB18_9 Depth=2
	s_mov_b64 s[80:81], exec
	v_readlane_b32 s40, v44, 20
	v_readlane_b32 s41, v44, 21
	s_and_b64 s[40:41], s[80:81], s[40:41]
	s_mov_b64 exec, s[40:41]
	s_cbranch_execz .LBB18_59
; %bb.58:                               ;   in Loop: Header=BB18_9 Depth=2
	v_ashrrev_i32_e32 v3, 31, v2
	v_lshlrev_b64 v[37:38], 3, v[2:3]
	v_mov_b32_e32 v3, s79
	v_add_co_u32_e64 v37, s[40:41], s78, v37
	v_add_u32_e32 v36, s83, v32
	v_addc_co_u32_e64 v38, s[40:41], v3, v38, s[40:41]
	global_load_dwordx2 v[38:39], v[37:38], off offset:24
	v_ashrrev_i32_e32 v37, 31, v36
	v_lshlrev_b64 v[36:37], 3, v[36:37]
	v_mov_b32_e32 v3, s75
	v_add_co_u32_e64 v36, s[40:41], s74, v36
	v_addc_co_u32_e64 v37, s[40:41], v3, v37, s[40:41]
	global_load_dwordx2 v[36:37], v[36:37], off
	s_waitcnt vmcnt(0)
	v_fma_f64 v[4:5], v[38:39], v[36:37], v[4:5]
.LBB18_59:                              ;   in Loop: Header=BB18_9 Depth=2
	s_or_b64 exec, exec, s[80:81]
.LBB18_60:                              ;   in Loop: Header=BB18_9 Depth=2
	s_or_b64 exec, exec, s[54:55]
.LBB18_61:                              ;   in Loop: Header=BB18_9 Depth=2
	s_or_b64 exec, exec, s[52:53]
	s_or_b64 exec, exec, s[50:51]
	s_and_saveexec_b64 s[50:51], vcc
	s_cbranch_execz .LBB18_14
.LBB18_62:                              ;   in Loop: Header=BB18_9 Depth=2
	s_and_saveexec_b64 s[52:53], s[20:21]
	s_cbranch_execz .LBB18_68
; %bb.63:                               ;   in Loop: Header=BB18_9 Depth=2
	s_and_saveexec_b64 s[54:55], s[12:13]
	s_cbranch_execz .LBB18_67
; %bb.64:                               ;   in Loop: Header=BB18_9 Depth=2
	s_mov_b64 s[80:81], exec
	v_readlane_b32 s40, v44, 22
	v_readlane_b32 s41, v44, 23
	s_and_b64 s[40:41], s[80:81], s[40:41]
	s_mov_b64 exec, s[40:41]
	s_cbranch_execz .LBB18_66
; %bb.65:                               ;   in Loop: Header=BB18_9 Depth=2
	v_ashrrev_i32_e32 v3, 31, v2
	v_lshlrev_b64 v[37:38], 3, v[2:3]
	v_mov_b32_e32 v3, s79
	v_add_co_u32_e64 v37, s[40:41], s78, v37
	v_add_u32_e32 v36, s83, v31
	v_addc_co_u32_e64 v38, s[40:41], v3, v38, s[40:41]
	global_load_dwordx2 v[38:39], v[37:38], off offset:32
	v_ashrrev_i32_e32 v37, 31, v36
	v_lshlrev_b64 v[36:37], 3, v[36:37]
	v_mov_b32_e32 v3, s75
	v_add_co_u32_e64 v36, s[40:41], s74, v36
	v_addc_co_u32_e64 v37, s[40:41], v3, v37, s[40:41]
	global_load_dwordx2 v[36:37], v[36:37], off
	s_waitcnt vmcnt(0)
	v_fma_f64 v[4:5], v[38:39], v[36:37], v[4:5]
.LBB18_66:                              ;   in Loop: Header=BB18_9 Depth=2
	s_or_b64 exec, exec, s[80:81]
.LBB18_67:                              ;   in Loop: Header=BB18_9 Depth=2
	s_or_b64 exec, exec, s[54:55]
.LBB18_68:                              ;   in Loop: Header=BB18_9 Depth=2
	s_or_b64 exec, exec, s[52:53]
	s_or_b64 exec, exec, s[50:51]
	s_and_saveexec_b64 s[50:51], s[2:3]
	s_cbranch_execz .LBB18_15
.LBB18_69:                              ;   in Loop: Header=BB18_9 Depth=2
	s_and_saveexec_b64 s[52:53], s[10:11]
	s_cbranch_execz .LBB18_75
; %bb.70:                               ;   in Loop: Header=BB18_9 Depth=2
	s_and_saveexec_b64 s[54:55], s[22:23]
	s_cbranch_execz .LBB18_74
; %bb.71:                               ;   in Loop: Header=BB18_9 Depth=2
	s_mov_b64 s[80:81], exec
	v_readlane_b32 s40, v44, 24
	v_readlane_b32 s41, v44, 25
	s_and_b64 s[40:41], s[80:81], s[40:41]
	s_mov_b64 exec, s[40:41]
	s_cbranch_execz .LBB18_73
; %bb.72:                               ;   in Loop: Header=BB18_9 Depth=2
	v_ashrrev_i32_e32 v3, 31, v2
	v_lshlrev_b64 v[37:38], 3, v[2:3]
	v_mov_b32_e32 v3, s79
	v_add_co_u32_e64 v37, s[40:41], s78, v37
	v_add_u32_e32 v36, s83, v30
	v_addc_co_u32_e64 v38, s[40:41], v3, v38, s[40:41]
	global_load_dwordx2 v[38:39], v[37:38], off offset:40
	v_ashrrev_i32_e32 v37, 31, v36
	v_lshlrev_b64 v[36:37], 3, v[36:37]
	v_mov_b32_e32 v3, s75
	v_add_co_u32_e64 v36, s[40:41], s74, v36
	v_addc_co_u32_e64 v37, s[40:41], v3, v37, s[40:41]
	global_load_dwordx2 v[36:37], v[36:37], off
	s_waitcnt vmcnt(0)
	v_fma_f64 v[4:5], v[38:39], v[36:37], v[4:5]
.LBB18_73:                              ;   in Loop: Header=BB18_9 Depth=2
	s_or_b64 exec, exec, s[80:81]
.LBB18_74:                              ;   in Loop: Header=BB18_9 Depth=2
	s_or_b64 exec, exec, s[54:55]
.LBB18_75:                              ;   in Loop: Header=BB18_9 Depth=2
	s_or_b64 exec, exec, s[52:53]
	s_or_b64 exec, exec, s[50:51]
	s_and_saveexec_b64 s[50:51], s[2:3]
	s_cbranch_execz .LBB18_16
.LBB18_76:                              ;   in Loop: Header=BB18_9 Depth=2
	s_and_saveexec_b64 s[52:53], s[14:15]
	s_cbranch_execz .LBB18_82
; %bb.77:                               ;   in Loop: Header=BB18_9 Depth=2
	s_and_saveexec_b64 s[54:55], s[22:23]
	s_cbranch_execz .LBB18_81
; %bb.78:                               ;   in Loop: Header=BB18_9 Depth=2
	s_mov_b64 s[80:81], exec
	v_readlane_b32 s40, v44, 26
	v_readlane_b32 s41, v44, 27
	s_and_b64 s[40:41], s[80:81], s[40:41]
	s_mov_b64 exec, s[40:41]
	s_cbranch_execz .LBB18_80
; %bb.79:                               ;   in Loop: Header=BB18_9 Depth=2
	v_ashrrev_i32_e32 v3, 31, v2
	v_lshlrev_b64 v[37:38], 3, v[2:3]
	v_mov_b32_e32 v3, s79
	v_add_co_u32_e64 v37, s[40:41], s78, v37
	v_add_u32_e32 v36, s83, v29
	v_addc_co_u32_e64 v38, s[40:41], v3, v38, s[40:41]
	global_load_dwordx2 v[38:39], v[37:38], off offset:48
	v_ashrrev_i32_e32 v37, 31, v36
	v_lshlrev_b64 v[36:37], 3, v[36:37]
	v_mov_b32_e32 v3, s75
	v_add_co_u32_e64 v36, s[40:41], s74, v36
	v_addc_co_u32_e64 v37, s[40:41], v3, v37, s[40:41]
	global_load_dwordx2 v[36:37], v[36:37], off
	s_waitcnt vmcnt(0)
	v_fma_f64 v[4:5], v[38:39], v[36:37], v[4:5]
.LBB18_80:                              ;   in Loop: Header=BB18_9 Depth=2
	s_or_b64 exec, exec, s[80:81]
.LBB18_81:                              ;   in Loop: Header=BB18_9 Depth=2
	s_or_b64 exec, exec, s[54:55]
.LBB18_82:                              ;   in Loop: Header=BB18_9 Depth=2
	s_or_b64 exec, exec, s[52:53]
	s_or_b64 exec, exec, s[50:51]
	s_and_saveexec_b64 s[50:51], s[2:3]
	s_cbranch_execz .LBB18_17
.LBB18_83:                              ;   in Loop: Header=BB18_9 Depth=2
	s_and_saveexec_b64 s[52:53], s[16:17]
	s_cbranch_execz .LBB18_89
; %bb.84:                               ;   in Loop: Header=BB18_9 Depth=2
	s_and_saveexec_b64 s[54:55], s[22:23]
	s_cbranch_execz .LBB18_88
; %bb.85:                               ;   in Loop: Header=BB18_9 Depth=2
	s_mov_b64 s[80:81], exec
	v_readlane_b32 s40, v44, 28
	v_readlane_b32 s41, v44, 29
	s_and_b64 s[40:41], s[80:81], s[40:41]
	s_mov_b64 exec, s[40:41]
	s_cbranch_execz .LBB18_87
; %bb.86:                               ;   in Loop: Header=BB18_9 Depth=2
	v_ashrrev_i32_e32 v3, 31, v2
	v_lshlrev_b64 v[37:38], 3, v[2:3]
	v_mov_b32_e32 v3, s79
	v_add_co_u32_e64 v37, s[40:41], s78, v37
	v_add_u32_e32 v36, s83, v28
	v_addc_co_u32_e64 v38, s[40:41], v3, v38, s[40:41]
	global_load_dwordx2 v[38:39], v[37:38], off offset:56
	v_ashrrev_i32_e32 v37, 31, v36
	v_lshlrev_b64 v[36:37], 3, v[36:37]
	v_mov_b32_e32 v3, s75
	v_add_co_u32_e64 v36, s[40:41], s74, v36
	v_addc_co_u32_e64 v37, s[40:41], v3, v37, s[40:41]
	global_load_dwordx2 v[36:37], v[36:37], off
	s_waitcnt vmcnt(0)
	v_fma_f64 v[4:5], v[38:39], v[36:37], v[4:5]
.LBB18_87:                              ;   in Loop: Header=BB18_9 Depth=2
	s_or_b64 exec, exec, s[80:81]
.LBB18_88:                              ;   in Loop: Header=BB18_9 Depth=2
	s_or_b64 exec, exec, s[54:55]
.LBB18_89:                              ;   in Loop: Header=BB18_9 Depth=2
	s_or_b64 exec, exec, s[52:53]
	s_or_b64 exec, exec, s[50:51]
	s_and_saveexec_b64 s[50:51], s[2:3]
	s_cbranch_execz .LBB18_18
.LBB18_90:                              ;   in Loop: Header=BB18_9 Depth=2
	s_and_saveexec_b64 s[52:53], s[18:19]
	s_cbranch_execz .LBB18_96
; %bb.91:                               ;   in Loop: Header=BB18_9 Depth=2
	s_and_saveexec_b64 s[54:55], s[22:23]
	s_cbranch_execz .LBB18_95
; %bb.92:                               ;   in Loop: Header=BB18_9 Depth=2
	s_mov_b64 s[80:81], exec
	v_readlane_b32 s40, v44, 30
	v_readlane_b32 s41, v44, 31
	s_and_b64 s[40:41], s[80:81], s[40:41]
	s_mov_b64 exec, s[40:41]
	s_cbranch_execz .LBB18_94
; %bb.93:                               ;   in Loop: Header=BB18_9 Depth=2
	v_ashrrev_i32_e32 v3, 31, v2
	v_lshlrev_b64 v[37:38], 3, v[2:3]
	v_mov_b32_e32 v3, s79
	v_add_co_u32_e64 v37, s[40:41], s78, v37
	v_add_u32_e32 v36, s83, v27
	v_addc_co_u32_e64 v38, s[40:41], v3, v38, s[40:41]
	global_load_dwordx2 v[38:39], v[37:38], off offset:64
	v_ashrrev_i32_e32 v37, 31, v36
	v_lshlrev_b64 v[36:37], 3, v[36:37]
	v_mov_b32_e32 v3, s75
	v_add_co_u32_e64 v36, s[40:41], s74, v36
	v_addc_co_u32_e64 v37, s[40:41], v3, v37, s[40:41]
	global_load_dwordx2 v[36:37], v[36:37], off
	s_waitcnt vmcnt(0)
	v_fma_f64 v[4:5], v[38:39], v[36:37], v[4:5]
.LBB18_94:                              ;   in Loop: Header=BB18_9 Depth=2
	s_or_b64 exec, exec, s[80:81]
.LBB18_95:                              ;   in Loop: Header=BB18_9 Depth=2
	s_or_b64 exec, exec, s[54:55]
.LBB18_96:                              ;   in Loop: Header=BB18_9 Depth=2
	s_or_b64 exec, exec, s[52:53]
	s_or_b64 exec, exec, s[50:51]
	s_and_saveexec_b64 s[50:51], s[2:3]
	s_cbranch_execz .LBB18_19
.LBB18_97:                              ;   in Loop: Header=BB18_9 Depth=2
	s_and_saveexec_b64 s[52:53], s[20:21]
	s_cbranch_execz .LBB18_103
; %bb.98:                               ;   in Loop: Header=BB18_9 Depth=2
	s_and_saveexec_b64 s[54:55], s[22:23]
	s_cbranch_execz .LBB18_102
; %bb.99:                               ;   in Loop: Header=BB18_9 Depth=2
	s_mov_b64 s[80:81], exec
	v_readlane_b32 s40, v44, 32
	v_readlane_b32 s41, v44, 33
	s_and_b64 s[40:41], s[80:81], s[40:41]
	s_mov_b64 exec, s[40:41]
	s_cbranch_execz .LBB18_101
; %bb.100:                              ;   in Loop: Header=BB18_9 Depth=2
	v_ashrrev_i32_e32 v3, 31, v2
	v_lshlrev_b64 v[37:38], 3, v[2:3]
	v_mov_b32_e32 v3, s79
	v_add_co_u32_e64 v37, s[40:41], s78, v37
	v_add_u32_e32 v36, s83, v26
	v_addc_co_u32_e64 v38, s[40:41], v3, v38, s[40:41]
	global_load_dwordx2 v[38:39], v[37:38], off offset:72
	v_ashrrev_i32_e32 v37, 31, v36
	v_lshlrev_b64 v[36:37], 3, v[36:37]
	v_mov_b32_e32 v3, s75
	v_add_co_u32_e64 v36, s[40:41], s74, v36
	v_addc_co_u32_e64 v37, s[40:41], v3, v37, s[40:41]
	global_load_dwordx2 v[36:37], v[36:37], off
	s_waitcnt vmcnt(0)
	v_fma_f64 v[4:5], v[38:39], v[36:37], v[4:5]
.LBB18_101:                             ;   in Loop: Header=BB18_9 Depth=2
	s_or_b64 exec, exec, s[80:81]
.LBB18_102:                             ;   in Loop: Header=BB18_9 Depth=2
	s_or_b64 exec, exec, s[54:55]
.LBB18_103:                             ;   in Loop: Header=BB18_9 Depth=2
	s_or_b64 exec, exec, s[52:53]
	s_or_b64 exec, exec, s[50:51]
	s_and_saveexec_b64 s[50:51], s[4:5]
	s_cbranch_execz .LBB18_20
.LBB18_104:                             ;   in Loop: Header=BB18_9 Depth=2
	s_and_saveexec_b64 s[52:53], s[10:11]
	s_cbranch_execz .LBB18_110
; %bb.105:                              ;   in Loop: Header=BB18_9 Depth=2
	s_and_saveexec_b64 s[54:55], s[24:25]
	s_cbranch_execz .LBB18_109
; %bb.106:                              ;   in Loop: Header=BB18_9 Depth=2
	s_mov_b64 s[80:81], exec
	v_readlane_b32 s40, v44, 34
	v_readlane_b32 s41, v44, 35
	s_and_b64 s[40:41], s[80:81], s[40:41]
	s_mov_b64 exec, s[40:41]
	s_cbranch_execz .LBB18_108
; %bb.107:                              ;   in Loop: Header=BB18_9 Depth=2
	v_ashrrev_i32_e32 v3, 31, v2
	v_lshlrev_b64 v[37:38], 3, v[2:3]
	v_mov_b32_e32 v3, s79
	v_add_co_u32_e64 v37, s[40:41], s78, v37
	v_add_u32_e32 v36, s83, v25
	v_addc_co_u32_e64 v38, s[40:41], v3, v38, s[40:41]
	global_load_dwordx2 v[38:39], v[37:38], off offset:80
	v_ashrrev_i32_e32 v37, 31, v36
	v_lshlrev_b64 v[36:37], 3, v[36:37]
	v_mov_b32_e32 v3, s75
	v_add_co_u32_e64 v36, s[40:41], s74, v36
	v_addc_co_u32_e64 v37, s[40:41], v3, v37, s[40:41]
	global_load_dwordx2 v[36:37], v[36:37], off
	s_waitcnt vmcnt(0)
	v_fma_f64 v[4:5], v[38:39], v[36:37], v[4:5]
.LBB18_108:                             ;   in Loop: Header=BB18_9 Depth=2
	s_or_b64 exec, exec, s[80:81]
.LBB18_109:                             ;   in Loop: Header=BB18_9 Depth=2
	s_or_b64 exec, exec, s[54:55]
.LBB18_110:                             ;   in Loop: Header=BB18_9 Depth=2
	s_or_b64 exec, exec, s[52:53]
	s_or_b64 exec, exec, s[50:51]
	s_and_saveexec_b64 s[50:51], s[4:5]
	s_cbranch_execz .LBB18_21
.LBB18_111:                             ;   in Loop: Header=BB18_9 Depth=2
	s_and_saveexec_b64 s[52:53], s[14:15]
	s_cbranch_execz .LBB18_117
; %bb.112:                              ;   in Loop: Header=BB18_9 Depth=2
	s_and_saveexec_b64 s[54:55], s[24:25]
	s_cbranch_execz .LBB18_116
; %bb.113:                              ;   in Loop: Header=BB18_9 Depth=2
	s_mov_b64 s[80:81], exec
	v_readlane_b32 s40, v44, 36
	v_readlane_b32 s41, v44, 37
	s_and_b64 s[40:41], s[80:81], s[40:41]
	s_mov_b64 exec, s[40:41]
	s_cbranch_execz .LBB18_115
; %bb.114:                              ;   in Loop: Header=BB18_9 Depth=2
	v_ashrrev_i32_e32 v3, 31, v2
	v_lshlrev_b64 v[37:38], 3, v[2:3]
	v_mov_b32_e32 v3, s79
	v_add_co_u32_e64 v37, s[40:41], s78, v37
	v_add_u32_e32 v36, s83, v24
	v_addc_co_u32_e64 v38, s[40:41], v3, v38, s[40:41]
	global_load_dwordx2 v[38:39], v[37:38], off offset:88
	v_ashrrev_i32_e32 v37, 31, v36
	v_lshlrev_b64 v[36:37], 3, v[36:37]
	v_mov_b32_e32 v3, s75
	v_add_co_u32_e64 v36, s[40:41], s74, v36
	v_addc_co_u32_e64 v37, s[40:41], v3, v37, s[40:41]
	global_load_dwordx2 v[36:37], v[36:37], off
	s_waitcnt vmcnt(0)
	v_fma_f64 v[4:5], v[38:39], v[36:37], v[4:5]
.LBB18_115:                             ;   in Loop: Header=BB18_9 Depth=2
	s_or_b64 exec, exec, s[80:81]
.LBB18_116:                             ;   in Loop: Header=BB18_9 Depth=2
	s_or_b64 exec, exec, s[54:55]
.LBB18_117:                             ;   in Loop: Header=BB18_9 Depth=2
	s_or_b64 exec, exec, s[52:53]
	s_or_b64 exec, exec, s[50:51]
	s_and_saveexec_b64 s[50:51], s[4:5]
	s_cbranch_execz .LBB18_22
.LBB18_118:                             ;   in Loop: Header=BB18_9 Depth=2
	s_and_saveexec_b64 s[52:53], s[16:17]
	s_cbranch_execz .LBB18_124
; %bb.119:                              ;   in Loop: Header=BB18_9 Depth=2
	s_and_saveexec_b64 s[54:55], s[24:25]
	s_cbranch_execz .LBB18_123
; %bb.120:                              ;   in Loop: Header=BB18_9 Depth=2
	s_mov_b64 s[80:81], exec
	v_readlane_b32 s40, v44, 38
	v_readlane_b32 s41, v44, 39
	s_and_b64 s[40:41], s[80:81], s[40:41]
	s_mov_b64 exec, s[40:41]
	s_cbranch_execz .LBB18_122
; %bb.121:                              ;   in Loop: Header=BB18_9 Depth=2
	v_ashrrev_i32_e32 v3, 31, v2
	v_lshlrev_b64 v[37:38], 3, v[2:3]
	v_mov_b32_e32 v3, s79
	v_add_co_u32_e64 v37, s[40:41], s78, v37
	v_add_u32_e32 v36, s83, v23
	v_addc_co_u32_e64 v38, s[40:41], v3, v38, s[40:41]
	global_load_dwordx2 v[38:39], v[37:38], off offset:96
	v_ashrrev_i32_e32 v37, 31, v36
	v_lshlrev_b64 v[36:37], 3, v[36:37]
	v_mov_b32_e32 v3, s75
	v_add_co_u32_e64 v36, s[40:41], s74, v36
	v_addc_co_u32_e64 v37, s[40:41], v3, v37, s[40:41]
	global_load_dwordx2 v[36:37], v[36:37], off
	s_waitcnt vmcnt(0)
	v_fma_f64 v[4:5], v[38:39], v[36:37], v[4:5]
.LBB18_122:                             ;   in Loop: Header=BB18_9 Depth=2
	s_or_b64 exec, exec, s[80:81]
.LBB18_123:                             ;   in Loop: Header=BB18_9 Depth=2
	s_or_b64 exec, exec, s[54:55]
.LBB18_124:                             ;   in Loop: Header=BB18_9 Depth=2
	s_or_b64 exec, exec, s[52:53]
	s_or_b64 exec, exec, s[50:51]
	s_and_saveexec_b64 s[50:51], s[4:5]
	s_cbranch_execz .LBB18_23
.LBB18_125:                             ;   in Loop: Header=BB18_9 Depth=2
	s_and_saveexec_b64 s[52:53], s[18:19]
	s_cbranch_execz .LBB18_131
; %bb.126:                              ;   in Loop: Header=BB18_9 Depth=2
	s_and_saveexec_b64 s[54:55], s[24:25]
	s_cbranch_execz .LBB18_130
; %bb.127:                              ;   in Loop: Header=BB18_9 Depth=2
	s_mov_b64 s[80:81], exec
	v_readlane_b32 s40, v44, 40
	v_readlane_b32 s41, v44, 41
	s_and_b64 s[40:41], s[80:81], s[40:41]
	s_mov_b64 exec, s[40:41]
	s_cbranch_execz .LBB18_129
; %bb.128:                              ;   in Loop: Header=BB18_9 Depth=2
	v_ashrrev_i32_e32 v3, 31, v2
	v_lshlrev_b64 v[37:38], 3, v[2:3]
	v_mov_b32_e32 v3, s79
	v_add_co_u32_e64 v37, s[40:41], s78, v37
	v_add_u32_e32 v36, s83, v22
	v_addc_co_u32_e64 v38, s[40:41], v3, v38, s[40:41]
	global_load_dwordx2 v[38:39], v[37:38], off offset:104
	v_ashrrev_i32_e32 v37, 31, v36
	v_lshlrev_b64 v[36:37], 3, v[36:37]
	v_mov_b32_e32 v3, s75
	v_add_co_u32_e64 v36, s[40:41], s74, v36
	v_addc_co_u32_e64 v37, s[40:41], v3, v37, s[40:41]
	global_load_dwordx2 v[36:37], v[36:37], off
	s_waitcnt vmcnt(0)
	v_fma_f64 v[4:5], v[38:39], v[36:37], v[4:5]
.LBB18_129:                             ;   in Loop: Header=BB18_9 Depth=2
	s_or_b64 exec, exec, s[80:81]
.LBB18_130:                             ;   in Loop: Header=BB18_9 Depth=2
	s_or_b64 exec, exec, s[54:55]
.LBB18_131:                             ;   in Loop: Header=BB18_9 Depth=2
	s_or_b64 exec, exec, s[52:53]
	s_or_b64 exec, exec, s[50:51]
	s_and_saveexec_b64 s[50:51], s[4:5]
	s_cbranch_execz .LBB18_24
.LBB18_132:                             ;   in Loop: Header=BB18_9 Depth=2
	s_and_saveexec_b64 s[52:53], s[20:21]
	s_cbranch_execz .LBB18_138
; %bb.133:                              ;   in Loop: Header=BB18_9 Depth=2
	s_and_saveexec_b64 s[54:55], s[24:25]
	s_cbranch_execz .LBB18_137
; %bb.134:                              ;   in Loop: Header=BB18_9 Depth=2
	;; [unrolled: 3-line block ×3, first 2 shown]
	v_ashrrev_i32_e32 v3, 31, v2
	v_lshlrev_b64 v[37:38], 3, v[2:3]
	v_mov_b32_e32 v3, s79
	v_add_co_u32_e64 v37, s[40:41], s78, v37
	v_add_u32_e32 v36, s83, v21
	v_addc_co_u32_e64 v38, s[40:41], v3, v38, s[40:41]
	global_load_dwordx2 v[38:39], v[37:38], off offset:112
	v_ashrrev_i32_e32 v37, 31, v36
	v_lshlrev_b64 v[36:37], 3, v[36:37]
	v_mov_b32_e32 v3, s75
	v_add_co_u32_e64 v36, s[40:41], s74, v36
	v_addc_co_u32_e64 v37, s[40:41], v3, v37, s[40:41]
	global_load_dwordx2 v[36:37], v[36:37], off
	s_waitcnt vmcnt(0)
	v_fma_f64 v[4:5], v[38:39], v[36:37], v[4:5]
.LBB18_136:                             ;   in Loop: Header=BB18_9 Depth=2
	s_or_b64 exec, exec, s[80:81]
.LBB18_137:                             ;   in Loop: Header=BB18_9 Depth=2
	s_or_b64 exec, exec, s[54:55]
.LBB18_138:                             ;   in Loop: Header=BB18_9 Depth=2
	s_or_b64 exec, exec, s[52:53]
	s_or_b64 exec, exec, s[50:51]
	s_and_saveexec_b64 s[50:51], s[6:7]
	s_cbranch_execz .LBB18_25
.LBB18_139:                             ;   in Loop: Header=BB18_9 Depth=2
	s_and_saveexec_b64 s[52:53], s[10:11]
	s_cbranch_execz .LBB18_145
; %bb.140:                              ;   in Loop: Header=BB18_9 Depth=2
	s_and_saveexec_b64 s[54:55], s[26:27]
	s_cbranch_execz .LBB18_144
; %bb.141:                              ;   in Loop: Header=BB18_9 Depth=2
	s_and_saveexec_b64 s[80:81], s[88:89]
	s_cbranch_execz .LBB18_143
; %bb.142:                              ;   in Loop: Header=BB18_9 Depth=2
	v_ashrrev_i32_e32 v3, 31, v2
	v_lshlrev_b64 v[37:38], 3, v[2:3]
	v_mov_b32_e32 v3, s79
	v_add_co_u32_e64 v37, s[40:41], s78, v37
	v_add_u32_e32 v36, s83, v20
	v_addc_co_u32_e64 v38, s[40:41], v3, v38, s[40:41]
	global_load_dwordx2 v[38:39], v[37:38], off offset:120
	v_ashrrev_i32_e32 v37, 31, v36
	v_lshlrev_b64 v[36:37], 3, v[36:37]
	v_mov_b32_e32 v3, s75
	v_add_co_u32_e64 v36, s[40:41], s74, v36
	v_addc_co_u32_e64 v37, s[40:41], v3, v37, s[40:41]
	global_load_dwordx2 v[36:37], v[36:37], off
	s_waitcnt vmcnt(0)
	v_fma_f64 v[4:5], v[38:39], v[36:37], v[4:5]
.LBB18_143:                             ;   in Loop: Header=BB18_9 Depth=2
	s_or_b64 exec, exec, s[80:81]
.LBB18_144:                             ;   in Loop: Header=BB18_9 Depth=2
	s_or_b64 exec, exec, s[54:55]
.LBB18_145:                             ;   in Loop: Header=BB18_9 Depth=2
	s_or_b64 exec, exec, s[52:53]
	s_or_b64 exec, exec, s[50:51]
	s_and_saveexec_b64 s[50:51], s[6:7]
	s_cbranch_execz .LBB18_26
.LBB18_146:                             ;   in Loop: Header=BB18_9 Depth=2
	s_and_saveexec_b64 s[52:53], s[14:15]
	s_cbranch_execz .LBB18_152
; %bb.147:                              ;   in Loop: Header=BB18_9 Depth=2
	s_and_saveexec_b64 s[54:55], s[26:27]
	s_cbranch_execz .LBB18_151
; %bb.148:                              ;   in Loop: Header=BB18_9 Depth=2
	;; [unrolled: 3-line block ×3, first 2 shown]
	v_ashrrev_i32_e32 v3, 31, v2
	v_lshlrev_b64 v[37:38], 3, v[2:3]
	v_mov_b32_e32 v3, s79
	v_add_co_u32_e64 v37, s[40:41], s78, v37
	v_add_u32_e32 v36, s83, v19
	v_addc_co_u32_e64 v38, s[40:41], v3, v38, s[40:41]
	global_load_dwordx2 v[38:39], v[37:38], off offset:128
	v_ashrrev_i32_e32 v37, 31, v36
	v_lshlrev_b64 v[36:37], 3, v[36:37]
	v_mov_b32_e32 v3, s75
	v_add_co_u32_e64 v36, s[40:41], s74, v36
	v_addc_co_u32_e64 v37, s[40:41], v3, v37, s[40:41]
	global_load_dwordx2 v[36:37], v[36:37], off
	s_waitcnt vmcnt(0)
	v_fma_f64 v[4:5], v[38:39], v[36:37], v[4:5]
.LBB18_150:                             ;   in Loop: Header=BB18_9 Depth=2
	s_or_b64 exec, exec, s[80:81]
.LBB18_151:                             ;   in Loop: Header=BB18_9 Depth=2
	s_or_b64 exec, exec, s[54:55]
.LBB18_152:                             ;   in Loop: Header=BB18_9 Depth=2
	s_or_b64 exec, exec, s[52:53]
	s_or_b64 exec, exec, s[50:51]
	s_and_saveexec_b64 s[50:51], s[6:7]
	s_cbranch_execz .LBB18_27
.LBB18_153:                             ;   in Loop: Header=BB18_9 Depth=2
	s_and_saveexec_b64 s[52:53], s[16:17]
	s_cbranch_execz .LBB18_159
; %bb.154:                              ;   in Loop: Header=BB18_9 Depth=2
	s_and_saveexec_b64 s[54:55], s[26:27]
	s_cbranch_execz .LBB18_158
; %bb.155:                              ;   in Loop: Header=BB18_9 Depth=2
	;; [unrolled: 3-line block ×3, first 2 shown]
	v_ashrrev_i32_e32 v3, 31, v2
	v_lshlrev_b64 v[37:38], 3, v[2:3]
	v_mov_b32_e32 v3, s79
	v_add_co_u32_e64 v37, s[40:41], s78, v37
	v_add_u32_e32 v36, s83, v18
	v_addc_co_u32_e64 v38, s[40:41], v3, v38, s[40:41]
	global_load_dwordx2 v[38:39], v[37:38], off offset:136
	v_ashrrev_i32_e32 v37, 31, v36
	v_lshlrev_b64 v[36:37], 3, v[36:37]
	v_mov_b32_e32 v3, s75
	v_add_co_u32_e64 v36, s[40:41], s74, v36
	v_addc_co_u32_e64 v37, s[40:41], v3, v37, s[40:41]
	global_load_dwordx2 v[36:37], v[36:37], off
	s_waitcnt vmcnt(0)
	v_fma_f64 v[4:5], v[38:39], v[36:37], v[4:5]
.LBB18_157:                             ;   in Loop: Header=BB18_9 Depth=2
	s_or_b64 exec, exec, s[80:81]
.LBB18_158:                             ;   in Loop: Header=BB18_9 Depth=2
	s_or_b64 exec, exec, s[54:55]
.LBB18_159:                             ;   in Loop: Header=BB18_9 Depth=2
	s_or_b64 exec, exec, s[52:53]
	s_or_b64 exec, exec, s[50:51]
	s_and_saveexec_b64 s[50:51], s[6:7]
	s_cbranch_execz .LBB18_28
.LBB18_160:                             ;   in Loop: Header=BB18_9 Depth=2
	s_and_saveexec_b64 s[52:53], s[18:19]
	s_cbranch_execz .LBB18_166
; %bb.161:                              ;   in Loop: Header=BB18_9 Depth=2
	s_and_saveexec_b64 s[54:55], s[26:27]
	s_cbranch_execz .LBB18_165
; %bb.162:                              ;   in Loop: Header=BB18_9 Depth=2
	;; [unrolled: 3-line block ×3, first 2 shown]
	v_ashrrev_i32_e32 v3, 31, v2
	v_lshlrev_b64 v[37:38], 3, v[2:3]
	v_mov_b32_e32 v3, s79
	v_add_co_u32_e64 v37, s[40:41], s78, v37
	v_add_u32_e32 v36, s83, v17
	v_addc_co_u32_e64 v38, s[40:41], v3, v38, s[40:41]
	global_load_dwordx2 v[38:39], v[37:38], off offset:144
	v_ashrrev_i32_e32 v37, 31, v36
	v_lshlrev_b64 v[36:37], 3, v[36:37]
	v_mov_b32_e32 v3, s75
	v_add_co_u32_e64 v36, s[40:41], s74, v36
	v_addc_co_u32_e64 v37, s[40:41], v3, v37, s[40:41]
	global_load_dwordx2 v[36:37], v[36:37], off
	s_waitcnt vmcnt(0)
	v_fma_f64 v[4:5], v[38:39], v[36:37], v[4:5]
.LBB18_164:                             ;   in Loop: Header=BB18_9 Depth=2
	s_or_b64 exec, exec, s[80:81]
.LBB18_165:                             ;   in Loop: Header=BB18_9 Depth=2
	s_or_b64 exec, exec, s[54:55]
.LBB18_166:                             ;   in Loop: Header=BB18_9 Depth=2
	s_or_b64 exec, exec, s[52:53]
	s_or_b64 exec, exec, s[50:51]
	s_and_saveexec_b64 s[50:51], s[6:7]
	s_cbranch_execz .LBB18_29
.LBB18_167:                             ;   in Loop: Header=BB18_9 Depth=2
	s_and_saveexec_b64 s[52:53], s[20:21]
	s_cbranch_execz .LBB18_173
; %bb.168:                              ;   in Loop: Header=BB18_9 Depth=2
	s_and_saveexec_b64 s[54:55], s[26:27]
	s_cbranch_execz .LBB18_172
; %bb.169:                              ;   in Loop: Header=BB18_9 Depth=2
	;; [unrolled: 3-line block ×3, first 2 shown]
	v_ashrrev_i32_e32 v3, 31, v2
	v_lshlrev_b64 v[37:38], 3, v[2:3]
	v_mov_b32_e32 v3, s79
	v_add_co_u32_e64 v37, s[40:41], s78, v37
	v_add_u32_e32 v36, s83, v16
	v_addc_co_u32_e64 v38, s[40:41], v3, v38, s[40:41]
	global_load_dwordx2 v[38:39], v[37:38], off offset:152
	v_ashrrev_i32_e32 v37, 31, v36
	v_lshlrev_b64 v[36:37], 3, v[36:37]
	v_mov_b32_e32 v3, s75
	v_add_co_u32_e64 v36, s[40:41], s74, v36
	v_addc_co_u32_e64 v37, s[40:41], v3, v37, s[40:41]
	global_load_dwordx2 v[36:37], v[36:37], off
	s_waitcnt vmcnt(0)
	v_fma_f64 v[4:5], v[38:39], v[36:37], v[4:5]
.LBB18_171:                             ;   in Loop: Header=BB18_9 Depth=2
	s_or_b64 exec, exec, s[80:81]
.LBB18_172:                             ;   in Loop: Header=BB18_9 Depth=2
	s_or_b64 exec, exec, s[54:55]
.LBB18_173:                             ;   in Loop: Header=BB18_9 Depth=2
	s_or_b64 exec, exec, s[52:53]
	s_or_b64 exec, exec, s[50:51]
	s_and_saveexec_b64 s[50:51], s[8:9]
	s_cbranch_execz .LBB18_30
.LBB18_174:                             ;   in Loop: Header=BB18_9 Depth=2
	s_and_saveexec_b64 s[52:53], s[28:29]
	s_cbranch_execz .LBB18_180
; %bb.175:                              ;   in Loop: Header=BB18_9 Depth=2
	s_and_saveexec_b64 s[54:55], s[30:31]
	s_cbranch_execz .LBB18_179
; %bb.176:                              ;   in Loop: Header=BB18_9 Depth=2
	;; [unrolled: 3-line block ×3, first 2 shown]
	v_ashrrev_i32_e32 v3, 31, v2
	v_lshlrev_b64 v[37:38], 3, v[2:3]
	v_mov_b32_e32 v3, s79
	v_add_co_u32_e64 v37, s[40:41], s78, v37
	v_add_u32_e32 v36, s83, v15
	v_addc_co_u32_e64 v38, s[40:41], v3, v38, s[40:41]
	global_load_dwordx2 v[38:39], v[37:38], off offset:160
	v_ashrrev_i32_e32 v37, 31, v36
	v_lshlrev_b64 v[36:37], 3, v[36:37]
	v_mov_b32_e32 v3, s75
	v_add_co_u32_e64 v36, s[40:41], s74, v36
	v_addc_co_u32_e64 v37, s[40:41], v3, v37, s[40:41]
	global_load_dwordx2 v[36:37], v[36:37], off
	s_waitcnt vmcnt(0)
	v_fma_f64 v[4:5], v[38:39], v[36:37], v[4:5]
.LBB18_178:                             ;   in Loop: Header=BB18_9 Depth=2
	s_or_b64 exec, exec, s[80:81]
.LBB18_179:                             ;   in Loop: Header=BB18_9 Depth=2
	s_or_b64 exec, exec, s[54:55]
.LBB18_180:                             ;   in Loop: Header=BB18_9 Depth=2
	s_or_b64 exec, exec, s[52:53]
	s_or_b64 exec, exec, s[50:51]
	s_and_saveexec_b64 s[50:51], s[8:9]
	s_cbranch_execz .LBB18_31
.LBB18_181:                             ;   in Loop: Header=BB18_9 Depth=2
	s_and_saveexec_b64 s[52:53], s[34:35]
	s_cbranch_execz .LBB18_187
; %bb.182:                              ;   in Loop: Header=BB18_9 Depth=2
	s_and_saveexec_b64 s[54:55], s[30:31]
	s_cbranch_execz .LBB18_186
; %bb.183:                              ;   in Loop: Header=BB18_9 Depth=2
	;; [unrolled: 3-line block ×3, first 2 shown]
	v_ashrrev_i32_e32 v3, 31, v2
	v_lshlrev_b64 v[37:38], 3, v[2:3]
	v_mov_b32_e32 v3, s79
	v_add_co_u32_e64 v37, s[40:41], s78, v37
	v_add_u32_e32 v36, s83, v14
	v_addc_co_u32_e64 v38, s[40:41], v3, v38, s[40:41]
	global_load_dwordx2 v[38:39], v[37:38], off offset:168
	v_ashrrev_i32_e32 v37, 31, v36
	v_lshlrev_b64 v[36:37], 3, v[36:37]
	v_mov_b32_e32 v3, s75
	v_add_co_u32_e64 v36, s[40:41], s74, v36
	v_addc_co_u32_e64 v37, s[40:41], v3, v37, s[40:41]
	global_load_dwordx2 v[36:37], v[36:37], off
	s_waitcnt vmcnt(0)
	v_fma_f64 v[4:5], v[38:39], v[36:37], v[4:5]
.LBB18_185:                             ;   in Loop: Header=BB18_9 Depth=2
	s_or_b64 exec, exec, s[80:81]
.LBB18_186:                             ;   in Loop: Header=BB18_9 Depth=2
	s_or_b64 exec, exec, s[54:55]
.LBB18_187:                             ;   in Loop: Header=BB18_9 Depth=2
	s_or_b64 exec, exec, s[52:53]
	s_or_b64 exec, exec, s[50:51]
	s_and_saveexec_b64 s[50:51], s[8:9]
	s_cbranch_execz .LBB18_32
.LBB18_188:                             ;   in Loop: Header=BB18_9 Depth=2
	s_and_saveexec_b64 s[52:53], s[36:37]
	s_cbranch_execz .LBB18_194
; %bb.189:                              ;   in Loop: Header=BB18_9 Depth=2
	s_and_saveexec_b64 s[54:55], s[30:31]
	s_cbranch_execz .LBB18_193
; %bb.190:                              ;   in Loop: Header=BB18_9 Depth=2
	;; [unrolled: 3-line block ×3, first 2 shown]
	v_ashrrev_i32_e32 v3, 31, v2
	v_lshlrev_b64 v[37:38], 3, v[2:3]
	v_mov_b32_e32 v3, s79
	v_add_co_u32_e64 v37, s[40:41], s78, v37
	v_add_u32_e32 v36, s83, v13
	v_addc_co_u32_e64 v38, s[40:41], v3, v38, s[40:41]
	global_load_dwordx2 v[38:39], v[37:38], off offset:176
	v_ashrrev_i32_e32 v37, 31, v36
	v_lshlrev_b64 v[36:37], 3, v[36:37]
	v_mov_b32_e32 v3, s75
	v_add_co_u32_e64 v36, s[40:41], s74, v36
	v_addc_co_u32_e64 v37, s[40:41], v3, v37, s[40:41]
	global_load_dwordx2 v[36:37], v[36:37], off
	s_waitcnt vmcnt(0)
	v_fma_f64 v[4:5], v[38:39], v[36:37], v[4:5]
.LBB18_192:                             ;   in Loop: Header=BB18_9 Depth=2
	s_or_b64 exec, exec, s[80:81]
.LBB18_193:                             ;   in Loop: Header=BB18_9 Depth=2
	s_or_b64 exec, exec, s[54:55]
.LBB18_194:                             ;   in Loop: Header=BB18_9 Depth=2
	s_or_b64 exec, exec, s[52:53]
	s_or_b64 exec, exec, s[50:51]
	s_and_saveexec_b64 s[50:51], s[8:9]
	s_cbranch_execz .LBB18_33
.LBB18_195:                             ;   in Loop: Header=BB18_9 Depth=2
	s_and_saveexec_b64 s[52:53], s[38:39]
	s_cbranch_execz .LBB18_201
; %bb.196:                              ;   in Loop: Header=BB18_9 Depth=2
	s_and_saveexec_b64 s[54:55], s[30:31]
	s_cbranch_execz .LBB18_200
; %bb.197:                              ;   in Loop: Header=BB18_9 Depth=2
	s_and_saveexec_b64 s[80:81], s[44:45]
	s_cbranch_execz .LBB18_199
; %bb.198:                              ;   in Loop: Header=BB18_9 Depth=2
	v_ashrrev_i32_e32 v3, 31, v2
	v_lshlrev_b64 v[37:38], 3, v[2:3]
	v_mov_b32_e32 v3, s79
	v_add_co_u32_e64 v37, s[40:41], s78, v37
	v_add_u32_e32 v36, s83, v12
	v_addc_co_u32_e64 v38, s[40:41], v3, v38, s[40:41]
	global_load_dwordx2 v[38:39], v[37:38], off offset:184
	v_ashrrev_i32_e32 v37, 31, v36
	v_lshlrev_b64 v[36:37], 3, v[36:37]
	v_mov_b32_e32 v3, s75
	v_add_co_u32_e64 v36, s[40:41], s74, v36
	v_addc_co_u32_e64 v37, s[40:41], v3, v37, s[40:41]
	global_load_dwordx2 v[36:37], v[36:37], off
	s_waitcnt vmcnt(0)
	v_fma_f64 v[4:5], v[38:39], v[36:37], v[4:5]
.LBB18_199:                             ;   in Loop: Header=BB18_9 Depth=2
	s_or_b64 exec, exec, s[80:81]
.LBB18_200:                             ;   in Loop: Header=BB18_9 Depth=2
	s_or_b64 exec, exec, s[54:55]
.LBB18_201:                             ;   in Loop: Header=BB18_9 Depth=2
	s_or_b64 exec, exec, s[52:53]
	s_or_b64 exec, exec, s[50:51]
	s_and_saveexec_b64 s[50:51], s[8:9]
	s_cbranch_execz .LBB18_8
.LBB18_202:                             ;   in Loop: Header=BB18_9 Depth=2
	s_and_saveexec_b64 s[52:53], s[46:47]
	s_cbranch_execz .LBB18_7
; %bb.203:                              ;   in Loop: Header=BB18_9 Depth=2
	s_and_saveexec_b64 s[54:55], s[48:49]
	s_cbranch_execz .LBB18_6
; %bb.204:                              ;   in Loop: Header=BB18_9 Depth=2
	v_ashrrev_i32_e32 v3, 31, v2
	v_lshlrev_b64 v[37:38], 3, v[2:3]
	v_mov_b32_e32 v3, s79
	v_add_co_u32_e64 v37, s[40:41], s78, v37
	v_add_u32_e32 v36, s83, v11
	v_addc_co_u32_e64 v38, s[40:41], v3, v38, s[40:41]
	global_load_dwordx2 v[38:39], v[37:38], off offset:192
	v_ashrrev_i32_e32 v37, 31, v36
	v_lshlrev_b64 v[36:37], 3, v[36:37]
	v_mov_b32_e32 v3, s75
	v_add_co_u32_e64 v36, s[40:41], s74, v36
	v_addc_co_u32_e64 v37, s[40:41], v3, v37, s[40:41]
	global_load_dwordx2 v[36:37], v[36:37], off
	s_waitcnt vmcnt(0)
	v_fma_f64 v[4:5], v[38:39], v[36:37], v[4:5]
	s_branch .LBB18_6
.LBB18_205:
	s_endpgm
	.section	.rodata,"a",@progbits
	.p2align	6, 0x0
	.amdhsa_kernel _ZN2at6native12_GLOBAL__N_132conv_depthwise2d_backward_kernelILi5ELi0EdiEEvN5torch10headeronly6detail27GenericPackedTensorAccessorINS5_14TensorAccessorIN3c108ArrayRefIlEEKT1_Lm3ENS4_16DefaultPtrTraitsEiEENS_6detail16IndexBoundsCheckILm4EiEESC_Lm4ESD_iEENS6_INS7_ISA_SB_Lm3ESD_iEESH_SB_Lm4ESD_iEESI_T2_iiiiiiiiiiiiiii
		.amdhsa_group_segment_fixed_size 0
		.amdhsa_private_segment_fixed_size 0
		.amdhsa_kernarg_size 440
		.amdhsa_user_sgpr_count 6
		.amdhsa_user_sgpr_private_segment_buffer 1
		.amdhsa_user_sgpr_dispatch_ptr 0
		.amdhsa_user_sgpr_queue_ptr 0
		.amdhsa_user_sgpr_kernarg_segment_ptr 1
		.amdhsa_user_sgpr_dispatch_id 0
		.amdhsa_user_sgpr_flat_scratch_init 0
		.amdhsa_user_sgpr_private_segment_size 0
		.amdhsa_uses_dynamic_stack 0
		.amdhsa_system_sgpr_private_segment_wavefront_offset 0
		.amdhsa_system_sgpr_workgroup_id_x 1
		.amdhsa_system_sgpr_workgroup_id_y 0
		.amdhsa_system_sgpr_workgroup_id_z 0
		.amdhsa_system_sgpr_workgroup_info 0
		.amdhsa_system_vgpr_workitem_id 0
		.amdhsa_next_free_vgpr 45
		.amdhsa_next_free_sgpr 96
		.amdhsa_reserve_vcc 1
		.amdhsa_reserve_flat_scratch 0
		.amdhsa_float_round_mode_32 0
		.amdhsa_float_round_mode_16_64 0
		.amdhsa_float_denorm_mode_32 3
		.amdhsa_float_denorm_mode_16_64 3
		.amdhsa_dx10_clamp 1
		.amdhsa_ieee_mode 1
		.amdhsa_fp16_overflow 0
		.amdhsa_exception_fp_ieee_invalid_op 0
		.amdhsa_exception_fp_denorm_src 0
		.amdhsa_exception_fp_ieee_div_zero 0
		.amdhsa_exception_fp_ieee_overflow 0
		.amdhsa_exception_fp_ieee_underflow 0
		.amdhsa_exception_fp_ieee_inexact 0
		.amdhsa_exception_int_div_zero 0
	.end_amdhsa_kernel
	.section	.text._ZN2at6native12_GLOBAL__N_132conv_depthwise2d_backward_kernelILi5ELi0EdiEEvN5torch10headeronly6detail27GenericPackedTensorAccessorINS5_14TensorAccessorIN3c108ArrayRefIlEEKT1_Lm3ENS4_16DefaultPtrTraitsEiEENS_6detail16IndexBoundsCheckILm4EiEESC_Lm4ESD_iEENS6_INS7_ISA_SB_Lm3ESD_iEESH_SB_Lm4ESD_iEESI_T2_iiiiiiiiiiiiiii,"axG",@progbits,_ZN2at6native12_GLOBAL__N_132conv_depthwise2d_backward_kernelILi5ELi0EdiEEvN5torch10headeronly6detail27GenericPackedTensorAccessorINS5_14TensorAccessorIN3c108ArrayRefIlEEKT1_Lm3ENS4_16DefaultPtrTraitsEiEENS_6detail16IndexBoundsCheckILm4EiEESC_Lm4ESD_iEENS6_INS7_ISA_SB_Lm3ESD_iEESH_SB_Lm4ESD_iEESI_T2_iiiiiiiiiiiiiii,comdat
.Lfunc_end18:
	.size	_ZN2at6native12_GLOBAL__N_132conv_depthwise2d_backward_kernelILi5ELi0EdiEEvN5torch10headeronly6detail27GenericPackedTensorAccessorINS5_14TensorAccessorIN3c108ArrayRefIlEEKT1_Lm3ENS4_16DefaultPtrTraitsEiEENS_6detail16IndexBoundsCheckILm4EiEESC_Lm4ESD_iEENS6_INS7_ISA_SB_Lm3ESD_iEESH_SB_Lm4ESD_iEESI_T2_iiiiiiiiiiiiiii, .Lfunc_end18-_ZN2at6native12_GLOBAL__N_132conv_depthwise2d_backward_kernelILi5ELi0EdiEEvN5torch10headeronly6detail27GenericPackedTensorAccessorINS5_14TensorAccessorIN3c108ArrayRefIlEEKT1_Lm3ENS4_16DefaultPtrTraitsEiEENS_6detail16IndexBoundsCheckILm4EiEESC_Lm4ESD_iEENS6_INS7_ISA_SB_Lm3ESD_iEESH_SB_Lm4ESD_iEESI_T2_iiiiiiiiiiiiiii
                                        ; -- End function
	.set _ZN2at6native12_GLOBAL__N_132conv_depthwise2d_backward_kernelILi5ELi0EdiEEvN5torch10headeronly6detail27GenericPackedTensorAccessorINS5_14TensorAccessorIN3c108ArrayRefIlEEKT1_Lm3ENS4_16DefaultPtrTraitsEiEENS_6detail16IndexBoundsCheckILm4EiEESC_Lm4ESD_iEENS6_INS7_ISA_SB_Lm3ESD_iEESH_SB_Lm4ESD_iEESI_T2_iiiiiiiiiiiiiii.num_vgpr, 45
	.set _ZN2at6native12_GLOBAL__N_132conv_depthwise2d_backward_kernelILi5ELi0EdiEEvN5torch10headeronly6detail27GenericPackedTensorAccessorINS5_14TensorAccessorIN3c108ArrayRefIlEEKT1_Lm3ENS4_16DefaultPtrTraitsEiEENS_6detail16IndexBoundsCheckILm4EiEESC_Lm4ESD_iEENS6_INS7_ISA_SB_Lm3ESD_iEESH_SB_Lm4ESD_iEESI_T2_iiiiiiiiiiiiiii.num_agpr, 0
	.set _ZN2at6native12_GLOBAL__N_132conv_depthwise2d_backward_kernelILi5ELi0EdiEEvN5torch10headeronly6detail27GenericPackedTensorAccessorINS5_14TensorAccessorIN3c108ArrayRefIlEEKT1_Lm3ENS4_16DefaultPtrTraitsEiEENS_6detail16IndexBoundsCheckILm4EiEESC_Lm4ESD_iEENS6_INS7_ISA_SB_Lm3ESD_iEESH_SB_Lm4ESD_iEESI_T2_iiiiiiiiiiiiiii.numbered_sgpr, 96
	.set _ZN2at6native12_GLOBAL__N_132conv_depthwise2d_backward_kernelILi5ELi0EdiEEvN5torch10headeronly6detail27GenericPackedTensorAccessorINS5_14TensorAccessorIN3c108ArrayRefIlEEKT1_Lm3ENS4_16DefaultPtrTraitsEiEENS_6detail16IndexBoundsCheckILm4EiEESC_Lm4ESD_iEENS6_INS7_ISA_SB_Lm3ESD_iEESH_SB_Lm4ESD_iEESI_T2_iiiiiiiiiiiiiii.num_named_barrier, 0
	.set _ZN2at6native12_GLOBAL__N_132conv_depthwise2d_backward_kernelILi5ELi0EdiEEvN5torch10headeronly6detail27GenericPackedTensorAccessorINS5_14TensorAccessorIN3c108ArrayRefIlEEKT1_Lm3ENS4_16DefaultPtrTraitsEiEENS_6detail16IndexBoundsCheckILm4EiEESC_Lm4ESD_iEENS6_INS7_ISA_SB_Lm3ESD_iEESH_SB_Lm4ESD_iEESI_T2_iiiiiiiiiiiiiii.private_seg_size, 0
	.set _ZN2at6native12_GLOBAL__N_132conv_depthwise2d_backward_kernelILi5ELi0EdiEEvN5torch10headeronly6detail27GenericPackedTensorAccessorINS5_14TensorAccessorIN3c108ArrayRefIlEEKT1_Lm3ENS4_16DefaultPtrTraitsEiEENS_6detail16IndexBoundsCheckILm4EiEESC_Lm4ESD_iEENS6_INS7_ISA_SB_Lm3ESD_iEESH_SB_Lm4ESD_iEESI_T2_iiiiiiiiiiiiiii.uses_vcc, 1
	.set _ZN2at6native12_GLOBAL__N_132conv_depthwise2d_backward_kernelILi5ELi0EdiEEvN5torch10headeronly6detail27GenericPackedTensorAccessorINS5_14TensorAccessorIN3c108ArrayRefIlEEKT1_Lm3ENS4_16DefaultPtrTraitsEiEENS_6detail16IndexBoundsCheckILm4EiEESC_Lm4ESD_iEENS6_INS7_ISA_SB_Lm3ESD_iEESH_SB_Lm4ESD_iEESI_T2_iiiiiiiiiiiiiii.uses_flat_scratch, 0
	.set _ZN2at6native12_GLOBAL__N_132conv_depthwise2d_backward_kernelILi5ELi0EdiEEvN5torch10headeronly6detail27GenericPackedTensorAccessorINS5_14TensorAccessorIN3c108ArrayRefIlEEKT1_Lm3ENS4_16DefaultPtrTraitsEiEENS_6detail16IndexBoundsCheckILm4EiEESC_Lm4ESD_iEENS6_INS7_ISA_SB_Lm3ESD_iEESH_SB_Lm4ESD_iEESI_T2_iiiiiiiiiiiiiii.has_dyn_sized_stack, 0
	.set _ZN2at6native12_GLOBAL__N_132conv_depthwise2d_backward_kernelILi5ELi0EdiEEvN5torch10headeronly6detail27GenericPackedTensorAccessorINS5_14TensorAccessorIN3c108ArrayRefIlEEKT1_Lm3ENS4_16DefaultPtrTraitsEiEENS_6detail16IndexBoundsCheckILm4EiEESC_Lm4ESD_iEENS6_INS7_ISA_SB_Lm3ESD_iEESH_SB_Lm4ESD_iEESI_T2_iiiiiiiiiiiiiii.has_recursion, 0
	.set _ZN2at6native12_GLOBAL__N_132conv_depthwise2d_backward_kernelILi5ELi0EdiEEvN5torch10headeronly6detail27GenericPackedTensorAccessorINS5_14TensorAccessorIN3c108ArrayRefIlEEKT1_Lm3ENS4_16DefaultPtrTraitsEiEENS_6detail16IndexBoundsCheckILm4EiEESC_Lm4ESD_iEENS6_INS7_ISA_SB_Lm3ESD_iEESH_SB_Lm4ESD_iEESI_T2_iiiiiiiiiiiiiii.has_indirect_call, 0
	.section	.AMDGPU.csdata,"",@progbits
; Kernel info:
; codeLenInByte = 7436
; TotalNumSgprs: 100
; NumVgprs: 45
; ScratchSize: 0
; MemoryBound: 0
; FloatMode: 240
; IeeeMode: 1
; LDSByteSize: 0 bytes/workgroup (compile time only)
; SGPRBlocks: 12
; VGPRBlocks: 11
; NumSGPRsForWavesPerEU: 100
; NumVGPRsForWavesPerEU: 45
; Occupancy: 5
; WaveLimiterHint : 0
; COMPUTE_PGM_RSRC2:SCRATCH_EN: 0
; COMPUTE_PGM_RSRC2:USER_SGPR: 6
; COMPUTE_PGM_RSRC2:TRAP_HANDLER: 0
; COMPUTE_PGM_RSRC2:TGID_X_EN: 1
; COMPUTE_PGM_RSRC2:TGID_Y_EN: 0
; COMPUTE_PGM_RSRC2:TGID_Z_EN: 0
; COMPUTE_PGM_RSRC2:TIDIG_COMP_CNT: 0
	.section	.text._ZN2at6native12_GLOBAL__N_132conv_depthwise2d_backward_kernelILi3ELi1EdiEEvN5torch10headeronly6detail27GenericPackedTensorAccessorINS5_14TensorAccessorIN3c108ArrayRefIlEEKT1_Lm3ENS4_16DefaultPtrTraitsEiEENS_6detail16IndexBoundsCheckILm4EiEESC_Lm4ESD_iEENS6_INS7_ISA_SB_Lm3ESD_iEESH_SB_Lm4ESD_iEESI_T2_iiiiiiiiiiiiiii,"axG",@progbits,_ZN2at6native12_GLOBAL__N_132conv_depthwise2d_backward_kernelILi3ELi1EdiEEvN5torch10headeronly6detail27GenericPackedTensorAccessorINS5_14TensorAccessorIN3c108ArrayRefIlEEKT1_Lm3ENS4_16DefaultPtrTraitsEiEENS_6detail16IndexBoundsCheckILm4EiEESC_Lm4ESD_iEENS6_INS7_ISA_SB_Lm3ESD_iEESH_SB_Lm4ESD_iEESI_T2_iiiiiiiiiiiiiii,comdat
	.globl	_ZN2at6native12_GLOBAL__N_132conv_depthwise2d_backward_kernelILi3ELi1EdiEEvN5torch10headeronly6detail27GenericPackedTensorAccessorINS5_14TensorAccessorIN3c108ArrayRefIlEEKT1_Lm3ENS4_16DefaultPtrTraitsEiEENS_6detail16IndexBoundsCheckILm4EiEESC_Lm4ESD_iEENS6_INS7_ISA_SB_Lm3ESD_iEESH_SB_Lm4ESD_iEESI_T2_iiiiiiiiiiiiiii ; -- Begin function _ZN2at6native12_GLOBAL__N_132conv_depthwise2d_backward_kernelILi3ELi1EdiEEvN5torch10headeronly6detail27GenericPackedTensorAccessorINS5_14TensorAccessorIN3c108ArrayRefIlEEKT1_Lm3ENS4_16DefaultPtrTraitsEiEENS_6detail16IndexBoundsCheckILm4EiEESC_Lm4ESD_iEENS6_INS7_ISA_SB_Lm3ESD_iEESH_SB_Lm4ESD_iEESI_T2_iiiiiiiiiiiiiii
	.p2align	8
	.type	_ZN2at6native12_GLOBAL__N_132conv_depthwise2d_backward_kernelILi3ELi1EdiEEvN5torch10headeronly6detail27GenericPackedTensorAccessorINS5_14TensorAccessorIN3c108ArrayRefIlEEKT1_Lm3ENS4_16DefaultPtrTraitsEiEENS_6detail16IndexBoundsCheckILm4EiEESC_Lm4ESD_iEENS6_INS7_ISA_SB_Lm3ESD_iEESH_SB_Lm4ESD_iEESI_T2_iiiiiiiiiiiiiii,@function
_ZN2at6native12_GLOBAL__N_132conv_depthwise2d_backward_kernelILi3ELi1EdiEEvN5torch10headeronly6detail27GenericPackedTensorAccessorINS5_14TensorAccessorIN3c108ArrayRefIlEEKT1_Lm3ENS4_16DefaultPtrTraitsEiEENS_6detail16IndexBoundsCheckILm4EiEESC_Lm4ESD_iEENS6_INS7_ISA_SB_Lm3ESD_iEESH_SB_Lm4ESD_iEESI_T2_iiiiiiiiiiiiiii: ; @_ZN2at6native12_GLOBAL__N_132conv_depthwise2d_backward_kernelILi3ELi1EdiEEvN5torch10headeronly6detail27GenericPackedTensorAccessorINS5_14TensorAccessorIN3c108ArrayRefIlEEKT1_Lm3ENS4_16DefaultPtrTraitsEiEENS_6detail16IndexBoundsCheckILm4EiEESC_Lm4ESD_iEENS6_INS7_ISA_SB_Lm3ESD_iEESH_SB_Lm4ESD_iEESI_T2_iiiiiiiiiiiiiii
; %bb.0:
	s_load_dword s2, s[4:5], 0xc4
	s_load_dwordx8 s[8:15], s[4:5], 0x78
	s_add_u32 s0, s4, 0xb8
	s_addc_u32 s1, s5, 0
	v_mov_b32_e32 v1, 0
	s_waitcnt lgkmcnt(0)
	s_and_b32 s2, s2, 0xffff
	v_mov_b32_e32 v2, s6
	v_mad_u64_u32 v[1:2], s[16:17], s2, v2, v[0:1]
	s_ashr_i32 s21, s8, 31
	s_mov_b32 s20, s8
	v_cmp_gt_i64_e32 vcc, s[20:21], v[1:2]
	s_and_saveexec_b64 s[16:17], vcc
	s_cbranch_execz .LBB19_25
; %bb.1:
	s_cmp_gt_i32 s10, 0
	s_cselect_b64 s[30:31], -1, 0
	s_abs_i32 s8, s12
	v_cvt_f32_u32_e32 v3, s8
	s_abs_i32 s33, s13
	v_cvt_f32_u32_e32 v4, s33
	s_abs_i32 s46, s9
	v_rcp_iflag_f32_e32 v3, v3
	v_cvt_f32_u32_e32 v5, s46
	v_rcp_iflag_f32_e32 v4, v4
	s_load_dwordx2 s[28:29], s[4:5], 0x98
	s_load_dwordx2 s[22:23], s[4:5], 0x0
	;; [unrolled: 1-line block ×4, first 2 shown]
	s_load_dword s3, s[0:1], 0x0
	v_mul_f32_e32 v3, 0x4f7ffffe, v3
	v_rcp_iflag_f32_e32 v5, v5
	v_cvt_u32_f32_e32 v3, v3
	v_mul_f32_e32 v4, 0x4f7ffffe, v4
	s_sub_i32 s0, 0, s8
	v_cvt_u32_f32_e32 v4, v4
	v_mul_f32_e32 v5, 0x4f7ffffe, v5
	v_mul_lo_u32 v6, s0, v3
	v_cvt_u32_f32_e32 v5, v5
	s_sub_i32 s0, 0, s33
	v_mul_lo_u32 v7, s0, v4
	s_sub_i32 s0, 0, s46
	v_mul_hi_u32 v6, v3, v6
	v_mul_lo_u32 v8, s0, v5
	s_load_dwordx4 s[16:19], s[4:5], 0xa8
	v_mul_hi_u32 v9, v4, v7
	v_add_u32_e32 v7, v3, v6
	v_mul_hi_u32 v3, v5, v8
	s_mul_i32 s0, s6, s2
	s_waitcnt lgkmcnt(0)
	s_add_i32 s0, s0, s16
	v_add_u32_e32 v0, s0, v0
	s_lshl_b32 s0, s18, 1
	v_add_u32_e32 v8, v4, v9
	v_add_u32_e32 v9, v5, v3
	s_mul_i32 s51, s29, s28
	v_subrev_u32_e32 v10, s0, v0
	s_lshl_b32 s0, s19, 1
	v_cndmask_b32_e64 v3, 0, 1, s[30:31]
	s_mul_i32 s47, s3, s2
	s_ashr_i32 s48, s12, 31
	s_ashr_i32 s49, s13, 31
	;; [unrolled: 1-line block ×3, first 2 shown]
	s_mul_i32 s52, s51, s10
	s_sub_i32 s53, 0, s12
	s_sub_i32 s54, s17, s0
	s_mul_i32 s55, s15, s14
	v_subrev_u32_e32 v11, s18, v0
	s_sub_i32 s56, s17, s19
	s_mov_b64 s[28:29], 0
	v_cmp_ne_u32_e64 s[0:1], 1, v3
	s_branch .LBB19_4
.LBB19_2:                               ;   in Loop: Header=BB19_4 Depth=1
	v_mov_b32_e32 v5, 0
	v_mov_b32_e32 v6, 0
.LBB19_3:                               ;   in Loop: Header=BB19_4 Depth=1
	v_lshlrev_b64 v[3:4], 3, v[1:2]
	v_mov_b32_e32 v12, s25
	v_add_co_u32_e32 v3, vcc, s24, v3
	v_addc_co_u32_e32 v4, vcc, v12, v4, vcc
	v_add_co_u32_e32 v1, vcc, s47, v1
	v_addc_co_u32_e32 v2, vcc, 0, v2, vcc
	v_cmp_le_i64_e32 vcc, s[20:21], v[1:2]
	v_add_u32_e32 v10, s47, v10
	v_add_u32_e32 v11, s47, v11
	s_or_b64 s[28:29], vcc, s[28:29]
	v_add_u32_e32 v0, s47, v0
	global_store_dwordx2 v[3:4], v[5:6], off
	s_andn2_b64 exec, exec, s[28:29]
	s_cbranch_execz .LBB19_25
.LBB19_4:                               ; =>This Loop Header: Depth=1
                                        ;     Child Loop BB19_7 Depth 2
	s_and_b64 vcc, exec, s[0:1]
	s_cbranch_vccnz .LBB19_2
; %bb.5:                                ;   in Loop: Header=BB19_4 Depth=1
	v_sub_u32_e32 v3, 0, v1
	v_max_i32_e32 v3, v1, v3
	v_mul_hi_u32 v5, v3, v7
	v_ashrrev_i32_e32 v4, 31, v1
	v_xor_b32_e32 v4, s48, v4
	v_add_u32_e32 v17, s16, v1
	v_mul_lo_u32 v6, v5, s8
	v_add_u32_e32 v12, 1, v5
	s_mov_b32 s57, s10
	v_sub_u32_e32 v3, v3, v6
	v_cmp_le_u32_e32 vcc, s8, v3
	v_subrev_u32_e32 v6, s8, v3
	v_cndmask_b32_e32 v5, v5, v12, vcc
	v_cndmask_b32_e32 v3, v3, v6, vcc
	v_add_u32_e32 v6, 1, v5
	v_cmp_le_u32_e32 vcc, s8, v3
	v_cndmask_b32_e32 v3, v5, v6, vcc
	v_xor_b32_e32 v5, v3, v4
	v_sub_u32_e32 v6, v5, v4
	v_sub_u32_e32 v3, 0, v6
	v_max_i32_e32 v3, v6, v3
	v_mul_hi_u32 v12, v3, v8
	v_ashrrev_i32_e32 v14, 31, v6
	v_xor_b32_e32 v14, s49, v14
	v_mul_lo_u32 v13, v12, s33
	v_add_u32_e32 v15, 1, v12
	v_sub_u32_e32 v3, v3, v13
	v_cmp_le_u32_e32 vcc, s33, v3
	v_subrev_u32_e32 v13, s33, v3
	v_cndmask_b32_e32 v12, v12, v15, vcc
	v_cndmask_b32_e32 v3, v3, v13, vcc
	v_add_u32_e32 v13, 1, v12
	v_cmp_le_u32_e32 vcc, s33, v3
	v_cndmask_b32_e32 v3, v12, v13, vcc
	v_xor_b32_e32 v3, v3, v14
	v_sub_u32_e32 v3, v3, v14
	v_sub_u32_e32 v12, 0, v3
	v_max_i32_e32 v12, v3, v12
	v_mul_hi_u32 v13, v12, v9
	v_ashrrev_i32_e32 v15, 31, v3
	v_xor_b32_e32 v15, s50, v15
	v_mul_lo_u32 v14, v13, s46
	v_add_u32_e32 v16, 1, v13
	v_sub_u32_e32 v12, v12, v14
	v_cmp_le_u32_e32 vcc, s46, v12
	v_subrev_u32_e32 v14, s46, v12
	v_cndmask_b32_e32 v13, v13, v16, vcc
	v_cndmask_b32_e32 v12, v12, v14, vcc
	v_add_u32_e32 v14, 1, v13
	v_cmp_le_u32_e32 vcc, s46, v12
	v_cndmask_b32_e32 v12, v13, v14, vcc
	v_xor_b32_e32 v12, v12, v15
	v_sub_u32_e32 v12, v12, v15
	v_mul_lo_u32 v13, v12, s9
	v_mul_lo_u32 v16, v3, s13
	;; [unrolled: 1-line block ×3, first 2 shown]
	v_sub_u32_e32 v14, v3, v13
	v_add_u32_e32 v13, s17, v6
	v_mul_lo_u32 v3, v12, s11
	v_sub_u32_e32 v12, v13, v16
	v_cmp_gt_i32_e32 vcc, 0, v12
	v_cmp_gt_i32_e64 s[2:3], s15, v12
	v_sub_u32_e32 v12, v17, v15
	v_cmp_lt_i32_e64 s[4:5], -1, v12
	v_cmp_gt_i32_e64 s[6:7], s14, v12
	v_add_u32_e32 v12, s18, v15
	v_sub_u32_e32 v15, v17, v12
	v_add_u32_e32 v12, s18, v12
	s_and_b64 s[30:31], s[4:5], s[6:7]
	v_cmp_lt_i32_e64 s[4:5], -1, v15
	v_cmp_gt_i32_e64 s[6:7], s14, v15
	v_sub_u32_e32 v12, v17, v12
	s_and_b64 s[36:37], s[4:5], s[6:7]
	v_cmp_lt_i32_e64 s[4:5], -1, v12
	v_cmp_gt_i32_e64 s[6:7], s14, v12
	v_add_u32_e32 v12, s19, v16
	v_sub_u32_e32 v15, v13, v12
	v_add_u32_e32 v12, s19, v12
	s_and_b64 s[40:41], s[4:5], s[6:7]
	v_sub_u32_e32 v12, v13, v12
	s_and_b64 s[34:35], s[2:3], s[30:31]
	s_and_b64 s[42:43], s[2:3], s[40:41]
	v_cmp_gt_i32_e64 s[4:5], s15, v15
	v_cmp_gt_i32_e64 s[6:7], s15, v12
	s_and_b64 s[44:45], s[4:5], s[30:31]
	s_and_b64 s[58:59], s[4:5], s[36:37]
	;; [unrolled: 1-line block ×3, first 2 shown]
	v_cmp_gt_i32_e64 s[4:5], 0, v12
	s_and_b64 s[62:63], s[6:7], s[30:31]
	s_and_b64 s[64:65], s[6:7], s[36:37]
	;; [unrolled: 1-line block ×3, first 2 shown]
	s_xor_b64 s[6:7], s[34:35], -1
	s_xor_b64 s[34:35], s[42:43], -1
	v_mad_u64_u32 v[12:13], s[42:43], v14, s10, v[3:4]
	s_and_b64 s[38:39], s[2:3], s[36:37]
	v_cmp_gt_i32_e64 s[2:3], 0, v15
	v_mul_lo_u32 v17, s15, v12
	v_mul_lo_u32 v12, s53, v6
	s_xor_b64 s[30:31], s[38:39], -1
	s_xor_b64 s[36:37], s[44:45], -1
	v_add3_u32 v6, s56, v5, v17
	v_add3_u32 v3, s54, v5, v17
	v_sub_u32_e32 v6, v6, v16
	v_add3_u32 v5, s17, v5, v17
	v_sub_u32_e32 v3, v3, v16
	v_sub_u32_e32 v6, v6, v4
	;; [unrolled: 1-line block ×4, first 2 shown]
	v_mul_lo_u32 v6, s14, v6
	v_sub_u32_e32 v4, v5, v4
	v_mul_lo_u32 v15, s14, v3
	v_mul_lo_u32 v4, s14, v4
	;; [unrolled: 1-line block ×3, first 2 shown]
	s_xor_b64 s[38:39], s[58:59], -1
	s_xor_b64 s[40:41], s[60:61], -1
	s_nor_b64 s[36:37], s[2:3], s[36:37]
	s_nor_b64 s[38:39], s[2:3], s[38:39]
	;; [unrolled: 1-line block ×3, first 2 shown]
	s_xor_b64 s[40:41], s[62:63], -1
	s_xor_b64 s[42:43], s[64:65], -1
	;; [unrolled: 1-line block ×3, first 2 shown]
	v_add_u32_e32 v16, v10, v6
	v_add_u32_e32 v17, v11, v6
	;; [unrolled: 1-line block ×3, first 2 shown]
	v_mov_b32_e32 v5, 0
	s_nor_b64 s[6:7], vcc, s[6:7]
	s_nor_b64 s[30:31], vcc, s[30:31]
	;; [unrolled: 1-line block ×3, first 2 shown]
	s_nor_b64 s[40:41], s[4:5], s[40:41]
	s_nor_b64 s[42:43], s[4:5], s[42:43]
	;; [unrolled: 1-line block ×3, first 2 shown]
	v_add_u32_e32 v13, v10, v15
	v_add_u32_e32 v14, v11, v15
	;; [unrolled: 1-line block ×6, first 2 shown]
	v_mov_b32_e32 v6, 0
	s_branch .LBB19_7
.LBB19_6:                               ;   in Loop: Header=BB19_7 Depth=2
	s_or_b64 exec, exec, s[44:45]
	s_add_i32 s57, s57, -1
	v_add_u32_e32 v3, s51, v3
	v_add_u32_e32 v13, s55, v13
	v_add_u32_e32 v14, s55, v14
	v_add_u32_e32 v15, s55, v15
	v_add_u32_e32 v16, s55, v16
	v_add_u32_e32 v17, s55, v17
	v_add_u32_e32 v18, s55, v18
	v_add_u32_e32 v19, s55, v19
	v_add_u32_e32 v20, s55, v20
	s_cmp_eq_u32 s57, 0
	v_add_u32_e32 v21, s55, v21
	s_cbranch_scc1 .LBB19_3
.LBB19_7:                               ;   Parent Loop BB19_4 Depth=1
                                        ; =>  This Inner Loop Header: Depth=2
	v_ashrrev_i32_e32 v4, 31, v3
	s_and_saveexec_b64 s[44:45], s[6:7]
	s_cbranch_execnz .LBB19_16
; %bb.8:                                ;   in Loop: Header=BB19_7 Depth=2
	s_or_b64 exec, exec, s[44:45]
	s_and_saveexec_b64 s[44:45], s[30:31]
	s_cbranch_execnz .LBB19_17
.LBB19_9:                               ;   in Loop: Header=BB19_7 Depth=2
	s_or_b64 exec, exec, s[44:45]
	s_and_saveexec_b64 s[44:45], s[34:35]
	s_cbranch_execnz .LBB19_18
.LBB19_10:                              ;   in Loop: Header=BB19_7 Depth=2
	s_or_b64 exec, exec, s[44:45]
	s_and_saveexec_b64 s[44:45], s[36:37]
	s_cbranch_execnz .LBB19_19
.LBB19_11:                              ;   in Loop: Header=BB19_7 Depth=2
	s_or_b64 exec, exec, s[44:45]
	s_and_saveexec_b64 s[44:45], s[38:39]
	s_cbranch_execnz .LBB19_20
.LBB19_12:                              ;   in Loop: Header=BB19_7 Depth=2
	s_or_b64 exec, exec, s[44:45]
	s_and_saveexec_b64 s[44:45], s[2:3]
	s_cbranch_execnz .LBB19_21
.LBB19_13:                              ;   in Loop: Header=BB19_7 Depth=2
	s_or_b64 exec, exec, s[44:45]
	s_and_saveexec_b64 s[44:45], s[40:41]
	s_cbranch_execnz .LBB19_22
.LBB19_14:                              ;   in Loop: Header=BB19_7 Depth=2
	s_or_b64 exec, exec, s[44:45]
	s_and_saveexec_b64 s[44:45], s[42:43]
	s_cbranch_execnz .LBB19_23
.LBB19_15:                              ;   in Loop: Header=BB19_7 Depth=2
	s_or_b64 exec, exec, s[44:45]
	s_and_saveexec_b64 s[44:45], s[4:5]
	s_cbranch_execz .LBB19_6
	s_branch .LBB19_24
.LBB19_16:                              ;   in Loop: Header=BB19_7 Depth=2
	v_lshlrev_b64 v[23:24], 3, v[3:4]
	v_mov_b32_e32 v25, s27
	v_add_co_u32_e32 v23, vcc, s26, v23
	v_add_u32_e32 v22, v12, v21
	v_addc_co_u32_e32 v24, vcc, v25, v24, vcc
	global_load_dwordx2 v[24:25], v[23:24], off
	v_ashrrev_i32_e32 v23, 31, v22
	v_lshlrev_b64 v[22:23], 3, v[22:23]
	v_mov_b32_e32 v26, s23
	v_add_co_u32_e32 v22, vcc, s22, v22
	v_addc_co_u32_e32 v23, vcc, v26, v23, vcc
	global_load_dwordx2 v[22:23], v[22:23], off
	s_waitcnt vmcnt(0)
	v_fma_f64 v[5:6], v[24:25], v[22:23], v[5:6]
	s_or_b64 exec, exec, s[44:45]
	s_and_saveexec_b64 s[44:45], s[30:31]
	s_cbranch_execz .LBB19_9
.LBB19_17:                              ;   in Loop: Header=BB19_7 Depth=2
	v_lshlrev_b64 v[23:24], 3, v[3:4]
	v_mov_b32_e32 v25, s27
	v_add_co_u32_e32 v23, vcc, s26, v23
	v_add_u32_e32 v22, v12, v20
	v_addc_co_u32_e32 v24, vcc, v25, v24, vcc
	global_load_dwordx2 v[24:25], v[23:24], off offset:8
	v_ashrrev_i32_e32 v23, 31, v22
	v_lshlrev_b64 v[22:23], 3, v[22:23]
	v_mov_b32_e32 v26, s23
	v_add_co_u32_e32 v22, vcc, s22, v22
	v_addc_co_u32_e32 v23, vcc, v26, v23, vcc
	global_load_dwordx2 v[22:23], v[22:23], off
	s_waitcnt vmcnt(0)
	v_fma_f64 v[5:6], v[24:25], v[22:23], v[5:6]
	s_or_b64 exec, exec, s[44:45]
	s_and_saveexec_b64 s[44:45], s[34:35]
	s_cbranch_execz .LBB19_10
.LBB19_18:                              ;   in Loop: Header=BB19_7 Depth=2
	v_lshlrev_b64 v[23:24], 3, v[3:4]
	v_mov_b32_e32 v25, s27
	v_add_co_u32_e32 v23, vcc, s26, v23
	v_add_u32_e32 v22, v12, v19
	v_addc_co_u32_e32 v24, vcc, v25, v24, vcc
	global_load_dwordx2 v[24:25], v[23:24], off offset:16
	v_ashrrev_i32_e32 v23, 31, v22
	v_lshlrev_b64 v[22:23], 3, v[22:23]
	v_mov_b32_e32 v26, s23
	v_add_co_u32_e32 v22, vcc, s22, v22
	v_addc_co_u32_e32 v23, vcc, v26, v23, vcc
	global_load_dwordx2 v[22:23], v[22:23], off
	s_waitcnt vmcnt(0)
	v_fma_f64 v[5:6], v[24:25], v[22:23], v[5:6]
	s_or_b64 exec, exec, s[44:45]
	s_and_saveexec_b64 s[44:45], s[36:37]
	s_cbranch_execz .LBB19_11
.LBB19_19:                              ;   in Loop: Header=BB19_7 Depth=2
	v_lshlrev_b64 v[23:24], 3, v[3:4]
	v_mov_b32_e32 v25, s27
	v_add_co_u32_e32 v23, vcc, s26, v23
	v_add_u32_e32 v22, v12, v18
	v_addc_co_u32_e32 v24, vcc, v25, v24, vcc
	global_load_dwordx2 v[24:25], v[23:24], off offset:24
	v_ashrrev_i32_e32 v23, 31, v22
	v_lshlrev_b64 v[22:23], 3, v[22:23]
	v_mov_b32_e32 v26, s23
	v_add_co_u32_e32 v22, vcc, s22, v22
	v_addc_co_u32_e32 v23, vcc, v26, v23, vcc
	global_load_dwordx2 v[22:23], v[22:23], off
	s_waitcnt vmcnt(0)
	v_fma_f64 v[5:6], v[24:25], v[22:23], v[5:6]
	s_or_b64 exec, exec, s[44:45]
	s_and_saveexec_b64 s[44:45], s[38:39]
	s_cbranch_execz .LBB19_12
.LBB19_20:                              ;   in Loop: Header=BB19_7 Depth=2
	v_lshlrev_b64 v[23:24], 3, v[3:4]
	v_mov_b32_e32 v25, s27
	v_add_co_u32_e32 v23, vcc, s26, v23
	v_add_u32_e32 v22, v12, v17
	v_addc_co_u32_e32 v24, vcc, v25, v24, vcc
	global_load_dwordx2 v[24:25], v[23:24], off offset:32
	v_ashrrev_i32_e32 v23, 31, v22
	v_lshlrev_b64 v[22:23], 3, v[22:23]
	v_mov_b32_e32 v26, s23
	v_add_co_u32_e32 v22, vcc, s22, v22
	v_addc_co_u32_e32 v23, vcc, v26, v23, vcc
	global_load_dwordx2 v[22:23], v[22:23], off
	s_waitcnt vmcnt(0)
	v_fma_f64 v[5:6], v[24:25], v[22:23], v[5:6]
	s_or_b64 exec, exec, s[44:45]
	s_and_saveexec_b64 s[44:45], s[2:3]
	s_cbranch_execz .LBB19_13
.LBB19_21:                              ;   in Loop: Header=BB19_7 Depth=2
	v_lshlrev_b64 v[23:24], 3, v[3:4]
	v_mov_b32_e32 v25, s27
	v_add_co_u32_e32 v23, vcc, s26, v23
	v_add_u32_e32 v22, v12, v16
	v_addc_co_u32_e32 v24, vcc, v25, v24, vcc
	global_load_dwordx2 v[24:25], v[23:24], off offset:40
	v_ashrrev_i32_e32 v23, 31, v22
	v_lshlrev_b64 v[22:23], 3, v[22:23]
	v_mov_b32_e32 v26, s23
	v_add_co_u32_e32 v22, vcc, s22, v22
	v_addc_co_u32_e32 v23, vcc, v26, v23, vcc
	global_load_dwordx2 v[22:23], v[22:23], off
	s_waitcnt vmcnt(0)
	v_fma_f64 v[5:6], v[24:25], v[22:23], v[5:6]
	s_or_b64 exec, exec, s[44:45]
	s_and_saveexec_b64 s[44:45], s[40:41]
	s_cbranch_execz .LBB19_14
.LBB19_22:                              ;   in Loop: Header=BB19_7 Depth=2
	v_lshlrev_b64 v[23:24], 3, v[3:4]
	v_mov_b32_e32 v25, s27
	v_add_co_u32_e32 v23, vcc, s26, v23
	v_add_u32_e32 v22, v12, v15
	v_addc_co_u32_e32 v24, vcc, v25, v24, vcc
	global_load_dwordx2 v[24:25], v[23:24], off offset:48
	v_ashrrev_i32_e32 v23, 31, v22
	v_lshlrev_b64 v[22:23], 3, v[22:23]
	v_mov_b32_e32 v26, s23
	v_add_co_u32_e32 v22, vcc, s22, v22
	v_addc_co_u32_e32 v23, vcc, v26, v23, vcc
	global_load_dwordx2 v[22:23], v[22:23], off
	s_waitcnt vmcnt(0)
	v_fma_f64 v[5:6], v[24:25], v[22:23], v[5:6]
	s_or_b64 exec, exec, s[44:45]
	s_and_saveexec_b64 s[44:45], s[42:43]
	s_cbranch_execz .LBB19_15
.LBB19_23:                              ;   in Loop: Header=BB19_7 Depth=2
	v_lshlrev_b64 v[23:24], 3, v[3:4]
	v_mov_b32_e32 v25, s27
	v_add_co_u32_e32 v23, vcc, s26, v23
	v_add_u32_e32 v22, v12, v14
	v_addc_co_u32_e32 v24, vcc, v25, v24, vcc
	global_load_dwordx2 v[24:25], v[23:24], off offset:56
	v_ashrrev_i32_e32 v23, 31, v22
	v_lshlrev_b64 v[22:23], 3, v[22:23]
	v_mov_b32_e32 v26, s23
	v_add_co_u32_e32 v22, vcc, s22, v22
	v_addc_co_u32_e32 v23, vcc, v26, v23, vcc
	global_load_dwordx2 v[22:23], v[22:23], off
	s_waitcnt vmcnt(0)
	v_fma_f64 v[5:6], v[24:25], v[22:23], v[5:6]
	s_or_b64 exec, exec, s[44:45]
	s_and_saveexec_b64 s[44:45], s[4:5]
	s_cbranch_execz .LBB19_6
.LBB19_24:                              ;   in Loop: Header=BB19_7 Depth=2
	v_lshlrev_b64 v[23:24], 3, v[3:4]
	v_mov_b32_e32 v4, s27
	v_add_co_u32_e32 v23, vcc, s26, v23
	v_add_u32_e32 v22, v12, v13
	v_addc_co_u32_e32 v24, vcc, v4, v24, vcc
	global_load_dwordx2 v[24:25], v[23:24], off offset:64
	v_ashrrev_i32_e32 v23, 31, v22
	v_lshlrev_b64 v[22:23], 3, v[22:23]
	v_mov_b32_e32 v4, s23
	v_add_co_u32_e32 v22, vcc, s22, v22
	v_addc_co_u32_e32 v23, vcc, v4, v23, vcc
	global_load_dwordx2 v[22:23], v[22:23], off
	s_waitcnt vmcnt(0)
	v_fma_f64 v[5:6], v[24:25], v[22:23], v[5:6]
	s_branch .LBB19_6
.LBB19_25:
	s_endpgm
	.section	.rodata,"a",@progbits
	.p2align	6, 0x0
	.amdhsa_kernel _ZN2at6native12_GLOBAL__N_132conv_depthwise2d_backward_kernelILi3ELi1EdiEEvN5torch10headeronly6detail27GenericPackedTensorAccessorINS5_14TensorAccessorIN3c108ArrayRefIlEEKT1_Lm3ENS4_16DefaultPtrTraitsEiEENS_6detail16IndexBoundsCheckILm4EiEESC_Lm4ESD_iEENS6_INS7_ISA_SB_Lm3ESD_iEESH_SB_Lm4ESD_iEESI_T2_iiiiiiiiiiiiiii
		.amdhsa_group_segment_fixed_size 0
		.amdhsa_private_segment_fixed_size 0
		.amdhsa_kernarg_size 440
		.amdhsa_user_sgpr_count 6
		.amdhsa_user_sgpr_private_segment_buffer 1
		.amdhsa_user_sgpr_dispatch_ptr 0
		.amdhsa_user_sgpr_queue_ptr 0
		.amdhsa_user_sgpr_kernarg_segment_ptr 1
		.amdhsa_user_sgpr_dispatch_id 0
		.amdhsa_user_sgpr_flat_scratch_init 0
		.amdhsa_user_sgpr_private_segment_size 0
		.amdhsa_uses_dynamic_stack 0
		.amdhsa_system_sgpr_private_segment_wavefront_offset 0
		.amdhsa_system_sgpr_workgroup_id_x 1
		.amdhsa_system_sgpr_workgroup_id_y 0
		.amdhsa_system_sgpr_workgroup_id_z 0
		.amdhsa_system_sgpr_workgroup_info 0
		.amdhsa_system_vgpr_workitem_id 0
		.amdhsa_next_free_vgpr 27
		.amdhsa_next_free_sgpr 68
		.amdhsa_reserve_vcc 1
		.amdhsa_reserve_flat_scratch 0
		.amdhsa_float_round_mode_32 0
		.amdhsa_float_round_mode_16_64 0
		.amdhsa_float_denorm_mode_32 3
		.amdhsa_float_denorm_mode_16_64 3
		.amdhsa_dx10_clamp 1
		.amdhsa_ieee_mode 1
		.amdhsa_fp16_overflow 0
		.amdhsa_exception_fp_ieee_invalid_op 0
		.amdhsa_exception_fp_denorm_src 0
		.amdhsa_exception_fp_ieee_div_zero 0
		.amdhsa_exception_fp_ieee_overflow 0
		.amdhsa_exception_fp_ieee_underflow 0
		.amdhsa_exception_fp_ieee_inexact 0
		.amdhsa_exception_int_div_zero 0
	.end_amdhsa_kernel
	.section	.text._ZN2at6native12_GLOBAL__N_132conv_depthwise2d_backward_kernelILi3ELi1EdiEEvN5torch10headeronly6detail27GenericPackedTensorAccessorINS5_14TensorAccessorIN3c108ArrayRefIlEEKT1_Lm3ENS4_16DefaultPtrTraitsEiEENS_6detail16IndexBoundsCheckILm4EiEESC_Lm4ESD_iEENS6_INS7_ISA_SB_Lm3ESD_iEESH_SB_Lm4ESD_iEESI_T2_iiiiiiiiiiiiiii,"axG",@progbits,_ZN2at6native12_GLOBAL__N_132conv_depthwise2d_backward_kernelILi3ELi1EdiEEvN5torch10headeronly6detail27GenericPackedTensorAccessorINS5_14TensorAccessorIN3c108ArrayRefIlEEKT1_Lm3ENS4_16DefaultPtrTraitsEiEENS_6detail16IndexBoundsCheckILm4EiEESC_Lm4ESD_iEENS6_INS7_ISA_SB_Lm3ESD_iEESH_SB_Lm4ESD_iEESI_T2_iiiiiiiiiiiiiii,comdat
.Lfunc_end19:
	.size	_ZN2at6native12_GLOBAL__N_132conv_depthwise2d_backward_kernelILi3ELi1EdiEEvN5torch10headeronly6detail27GenericPackedTensorAccessorINS5_14TensorAccessorIN3c108ArrayRefIlEEKT1_Lm3ENS4_16DefaultPtrTraitsEiEENS_6detail16IndexBoundsCheckILm4EiEESC_Lm4ESD_iEENS6_INS7_ISA_SB_Lm3ESD_iEESH_SB_Lm4ESD_iEESI_T2_iiiiiiiiiiiiiii, .Lfunc_end19-_ZN2at6native12_GLOBAL__N_132conv_depthwise2d_backward_kernelILi3ELi1EdiEEvN5torch10headeronly6detail27GenericPackedTensorAccessorINS5_14TensorAccessorIN3c108ArrayRefIlEEKT1_Lm3ENS4_16DefaultPtrTraitsEiEENS_6detail16IndexBoundsCheckILm4EiEESC_Lm4ESD_iEENS6_INS7_ISA_SB_Lm3ESD_iEESH_SB_Lm4ESD_iEESI_T2_iiiiiiiiiiiiiii
                                        ; -- End function
	.set _ZN2at6native12_GLOBAL__N_132conv_depthwise2d_backward_kernelILi3ELi1EdiEEvN5torch10headeronly6detail27GenericPackedTensorAccessorINS5_14TensorAccessorIN3c108ArrayRefIlEEKT1_Lm3ENS4_16DefaultPtrTraitsEiEENS_6detail16IndexBoundsCheckILm4EiEESC_Lm4ESD_iEENS6_INS7_ISA_SB_Lm3ESD_iEESH_SB_Lm4ESD_iEESI_T2_iiiiiiiiiiiiiii.num_vgpr, 27
	.set _ZN2at6native12_GLOBAL__N_132conv_depthwise2d_backward_kernelILi3ELi1EdiEEvN5torch10headeronly6detail27GenericPackedTensorAccessorINS5_14TensorAccessorIN3c108ArrayRefIlEEKT1_Lm3ENS4_16DefaultPtrTraitsEiEENS_6detail16IndexBoundsCheckILm4EiEESC_Lm4ESD_iEENS6_INS7_ISA_SB_Lm3ESD_iEESH_SB_Lm4ESD_iEESI_T2_iiiiiiiiiiiiiii.num_agpr, 0
	.set _ZN2at6native12_GLOBAL__N_132conv_depthwise2d_backward_kernelILi3ELi1EdiEEvN5torch10headeronly6detail27GenericPackedTensorAccessorINS5_14TensorAccessorIN3c108ArrayRefIlEEKT1_Lm3ENS4_16DefaultPtrTraitsEiEENS_6detail16IndexBoundsCheckILm4EiEESC_Lm4ESD_iEENS6_INS7_ISA_SB_Lm3ESD_iEESH_SB_Lm4ESD_iEESI_T2_iiiiiiiiiiiiiii.numbered_sgpr, 68
	.set _ZN2at6native12_GLOBAL__N_132conv_depthwise2d_backward_kernelILi3ELi1EdiEEvN5torch10headeronly6detail27GenericPackedTensorAccessorINS5_14TensorAccessorIN3c108ArrayRefIlEEKT1_Lm3ENS4_16DefaultPtrTraitsEiEENS_6detail16IndexBoundsCheckILm4EiEESC_Lm4ESD_iEENS6_INS7_ISA_SB_Lm3ESD_iEESH_SB_Lm4ESD_iEESI_T2_iiiiiiiiiiiiiii.num_named_barrier, 0
	.set _ZN2at6native12_GLOBAL__N_132conv_depthwise2d_backward_kernelILi3ELi1EdiEEvN5torch10headeronly6detail27GenericPackedTensorAccessorINS5_14TensorAccessorIN3c108ArrayRefIlEEKT1_Lm3ENS4_16DefaultPtrTraitsEiEENS_6detail16IndexBoundsCheckILm4EiEESC_Lm4ESD_iEENS6_INS7_ISA_SB_Lm3ESD_iEESH_SB_Lm4ESD_iEESI_T2_iiiiiiiiiiiiiii.private_seg_size, 0
	.set _ZN2at6native12_GLOBAL__N_132conv_depthwise2d_backward_kernelILi3ELi1EdiEEvN5torch10headeronly6detail27GenericPackedTensorAccessorINS5_14TensorAccessorIN3c108ArrayRefIlEEKT1_Lm3ENS4_16DefaultPtrTraitsEiEENS_6detail16IndexBoundsCheckILm4EiEESC_Lm4ESD_iEENS6_INS7_ISA_SB_Lm3ESD_iEESH_SB_Lm4ESD_iEESI_T2_iiiiiiiiiiiiiii.uses_vcc, 1
	.set _ZN2at6native12_GLOBAL__N_132conv_depthwise2d_backward_kernelILi3ELi1EdiEEvN5torch10headeronly6detail27GenericPackedTensorAccessorINS5_14TensorAccessorIN3c108ArrayRefIlEEKT1_Lm3ENS4_16DefaultPtrTraitsEiEENS_6detail16IndexBoundsCheckILm4EiEESC_Lm4ESD_iEENS6_INS7_ISA_SB_Lm3ESD_iEESH_SB_Lm4ESD_iEESI_T2_iiiiiiiiiiiiiii.uses_flat_scratch, 0
	.set _ZN2at6native12_GLOBAL__N_132conv_depthwise2d_backward_kernelILi3ELi1EdiEEvN5torch10headeronly6detail27GenericPackedTensorAccessorINS5_14TensorAccessorIN3c108ArrayRefIlEEKT1_Lm3ENS4_16DefaultPtrTraitsEiEENS_6detail16IndexBoundsCheckILm4EiEESC_Lm4ESD_iEENS6_INS7_ISA_SB_Lm3ESD_iEESH_SB_Lm4ESD_iEESI_T2_iiiiiiiiiiiiiii.has_dyn_sized_stack, 0
	.set _ZN2at6native12_GLOBAL__N_132conv_depthwise2d_backward_kernelILi3ELi1EdiEEvN5torch10headeronly6detail27GenericPackedTensorAccessorINS5_14TensorAccessorIN3c108ArrayRefIlEEKT1_Lm3ENS4_16DefaultPtrTraitsEiEENS_6detail16IndexBoundsCheckILm4EiEESC_Lm4ESD_iEENS6_INS7_ISA_SB_Lm3ESD_iEESH_SB_Lm4ESD_iEESI_T2_iiiiiiiiiiiiiii.has_recursion, 0
	.set _ZN2at6native12_GLOBAL__N_132conv_depthwise2d_backward_kernelILi3ELi1EdiEEvN5torch10headeronly6detail27GenericPackedTensorAccessorINS5_14TensorAccessorIN3c108ArrayRefIlEEKT1_Lm3ENS4_16DefaultPtrTraitsEiEENS_6detail16IndexBoundsCheckILm4EiEESC_Lm4ESD_iEENS6_INS7_ISA_SB_Lm3ESD_iEESH_SB_Lm4ESD_iEESI_T2_iiiiiiiiiiiiiii.has_indirect_call, 0
	.section	.AMDGPU.csdata,"",@progbits
; Kernel info:
; codeLenInByte = 2088
; TotalNumSgprs: 72
; NumVgprs: 27
; ScratchSize: 0
; MemoryBound: 0
; FloatMode: 240
; IeeeMode: 1
; LDSByteSize: 0 bytes/workgroup (compile time only)
; SGPRBlocks: 8
; VGPRBlocks: 6
; NumSGPRsForWavesPerEU: 72
; NumVGPRsForWavesPerEU: 27
; Occupancy: 9
; WaveLimiterHint : 0
; COMPUTE_PGM_RSRC2:SCRATCH_EN: 0
; COMPUTE_PGM_RSRC2:USER_SGPR: 6
; COMPUTE_PGM_RSRC2:TRAP_HANDLER: 0
; COMPUTE_PGM_RSRC2:TGID_X_EN: 1
; COMPUTE_PGM_RSRC2:TGID_Y_EN: 0
; COMPUTE_PGM_RSRC2:TGID_Z_EN: 0
; COMPUTE_PGM_RSRC2:TIDIG_COMP_CNT: 0
	.section	.text._ZN2at6native12_GLOBAL__N_132conv_depthwise2d_backward_kernelILi3ELi2EdiEEvN5torch10headeronly6detail27GenericPackedTensorAccessorINS5_14TensorAccessorIN3c108ArrayRefIlEEKT1_Lm3ENS4_16DefaultPtrTraitsEiEENS_6detail16IndexBoundsCheckILm4EiEESC_Lm4ESD_iEENS6_INS7_ISA_SB_Lm3ESD_iEESH_SB_Lm4ESD_iEESI_T2_iiiiiiiiiiiiiii,"axG",@progbits,_ZN2at6native12_GLOBAL__N_132conv_depthwise2d_backward_kernelILi3ELi2EdiEEvN5torch10headeronly6detail27GenericPackedTensorAccessorINS5_14TensorAccessorIN3c108ArrayRefIlEEKT1_Lm3ENS4_16DefaultPtrTraitsEiEENS_6detail16IndexBoundsCheckILm4EiEESC_Lm4ESD_iEENS6_INS7_ISA_SB_Lm3ESD_iEESH_SB_Lm4ESD_iEESI_T2_iiiiiiiiiiiiiii,comdat
	.globl	_ZN2at6native12_GLOBAL__N_132conv_depthwise2d_backward_kernelILi3ELi2EdiEEvN5torch10headeronly6detail27GenericPackedTensorAccessorINS5_14TensorAccessorIN3c108ArrayRefIlEEKT1_Lm3ENS4_16DefaultPtrTraitsEiEENS_6detail16IndexBoundsCheckILm4EiEESC_Lm4ESD_iEENS6_INS7_ISA_SB_Lm3ESD_iEESH_SB_Lm4ESD_iEESI_T2_iiiiiiiiiiiiiii ; -- Begin function _ZN2at6native12_GLOBAL__N_132conv_depthwise2d_backward_kernelILi3ELi2EdiEEvN5torch10headeronly6detail27GenericPackedTensorAccessorINS5_14TensorAccessorIN3c108ArrayRefIlEEKT1_Lm3ENS4_16DefaultPtrTraitsEiEENS_6detail16IndexBoundsCheckILm4EiEESC_Lm4ESD_iEENS6_INS7_ISA_SB_Lm3ESD_iEESH_SB_Lm4ESD_iEESI_T2_iiiiiiiiiiiiiii
	.p2align	8
	.type	_ZN2at6native12_GLOBAL__N_132conv_depthwise2d_backward_kernelILi3ELi2EdiEEvN5torch10headeronly6detail27GenericPackedTensorAccessorINS5_14TensorAccessorIN3c108ArrayRefIlEEKT1_Lm3ENS4_16DefaultPtrTraitsEiEENS_6detail16IndexBoundsCheckILm4EiEESC_Lm4ESD_iEENS6_INS7_ISA_SB_Lm3ESD_iEESH_SB_Lm4ESD_iEESI_T2_iiiiiiiiiiiiiii,@function
_ZN2at6native12_GLOBAL__N_132conv_depthwise2d_backward_kernelILi3ELi2EdiEEvN5torch10headeronly6detail27GenericPackedTensorAccessorINS5_14TensorAccessorIN3c108ArrayRefIlEEKT1_Lm3ENS4_16DefaultPtrTraitsEiEENS_6detail16IndexBoundsCheckILm4EiEESC_Lm4ESD_iEENS6_INS7_ISA_SB_Lm3ESD_iEESH_SB_Lm4ESD_iEESI_T2_iiiiiiiiiiiiiii: ; @_ZN2at6native12_GLOBAL__N_132conv_depthwise2d_backward_kernelILi3ELi2EdiEEvN5torch10headeronly6detail27GenericPackedTensorAccessorINS5_14TensorAccessorIN3c108ArrayRefIlEEKT1_Lm3ENS4_16DefaultPtrTraitsEiEENS_6detail16IndexBoundsCheckILm4EiEESC_Lm4ESD_iEENS6_INS7_ISA_SB_Lm3ESD_iEESH_SB_Lm4ESD_iEESI_T2_iiiiiiiiiiiiiii
; %bb.0:
	s_load_dword s2, s[4:5], 0xc4
	s_load_dwordx8 s[24:31], s[4:5], 0x78
	s_add_u32 s0, s4, 0xb8
	s_addc_u32 s1, s5, 0
	v_mov_b32_e32 v1, 0
	s_waitcnt lgkmcnt(0)
	s_and_b32 s2, s2, 0xffff
	v_mov_b32_e32 v2, s6
	v_mad_u64_u32 v[0:1], s[6:7], s2, v2, v[0:1]
	s_ashr_i32 s23, s24, 31
	s_mov_b32 s22, s24
	v_cmp_gt_i64_e32 vcc, s[22:23], v[0:1]
	s_and_saveexec_b64 s[6:7], vcc
	s_cbranch_execz .LBB20_25
; %bb.1:
	s_cmp_gt_i32 s26, 0
	s_cselect_b64 s[6:7], -1, 0
	s_abs_i32 s24, s28
	v_cvt_f32_u32_e32 v2, s24
	s_abs_i32 s33, s29
	v_cvt_f32_u32_e32 v3, s33
	s_abs_i32 s48, s25
	v_rcp_iflag_f32_e32 v2, v2
	v_cvt_f32_u32_e32 v4, s48
	v_rcp_iflag_f32_e32 v3, v3
	s_load_dwordx2 s[8:9], s[4:5], 0x98
	s_load_dwordx2 s[34:35], s[4:5], 0x0
	;; [unrolled: 1-line block ×4, first 2 shown]
	s_load_dword s3, s[0:1], 0x0
	v_mul_f32_e32 v2, 0x4f7ffffe, v2
	v_rcp_iflag_f32_e32 v4, v4
	v_cvt_u32_f32_e32 v2, v2
	v_mul_f32_e32 v3, 0x4f7ffffe, v3
	s_sub_i32 s0, 0, s24
	v_cvt_u32_f32_e32 v3, v3
	v_mul_f32_e32 v4, 0x4f7ffffe, v4
	v_mul_lo_u32 v5, s0, v2
	v_cvt_u32_f32_e32 v4, v4
	s_sub_i32 s0, 0, s33
	v_mul_lo_u32 v6, s0, v3
	s_sub_i32 s0, 0, s48
	v_mul_hi_u32 v5, v2, v5
	v_mul_lo_u32 v7, s0, v4
	v_mul_hi_u32 v8, v3, v6
	s_load_dwordx4 s[36:39], s[4:5], 0xa8
	v_add_u32_e32 v6, v2, v5
	v_mul_hi_u32 v2, v4, v7
	v_add_u32_e32 v7, v3, v8
	s_waitcnt lgkmcnt(0)
	s_mul_i32 s53, s9, s8
	s_mul_i32 s49, s3, s2
	v_add_u32_e32 v8, v4, v2
	v_cndmask_b32_e64 v2, 0, 1, s[6:7]
	s_ashr_i32 s50, s28, 31
	s_ashr_i32 s51, s29, 31
	;; [unrolled: 1-line block ×3, first 2 shown]
	s_mul_i32 s54, s53, s26
	s_mul_i32 s55, s31, s30
	s_mov_b64 s[44:45], 0
	v_cmp_ne_u32_e64 s[0:1], 1, v2
	s_branch .LBB20_4
.LBB20_2:                               ;   in Loop: Header=BB20_4 Depth=1
	v_mov_b32_e32 v2, 0
	v_mov_b32_e32 v3, 0
.LBB20_3:                               ;   in Loop: Header=BB20_4 Depth=1
	v_lshlrev_b64 v[4:5], 3, v[0:1]
	v_add_co_u32_e32 v0, vcc, s49, v0
	v_addc_co_u32_e32 v1, vcc, 0, v1, vcc
	v_cmp_le_i64_e32 vcc, s[22:23], v[0:1]
	v_mov_b32_e32 v9, s41
	v_add_co_u32_e64 v4, s[2:3], s40, v4
	v_addc_co_u32_e64 v5, s[2:3], v9, v5, s[2:3]
	s_or_b64 s[44:45], vcc, s[44:45]
	global_store_dwordx2 v[4:5], v[2:3], off
	s_andn2_b64 exec, exec, s[44:45]
	s_cbranch_execz .LBB20_25
.LBB20_4:                               ; =>This Loop Header: Depth=1
                                        ;     Child Loop BB20_7 Depth 2
	s_and_b64 vcc, exec, s[0:1]
	s_cbranch_vccnz .LBB20_2
; %bb.5:                                ;   in Loop: Header=BB20_4 Depth=1
	v_sub_u32_e32 v2, 0, v0
	v_max_i32_e32 v2, v0, v2
	v_mul_hi_u32 v3, v2, v6
	v_ashrrev_i32_e32 v5, 31, v0
	v_xor_b32_e32 v5, s50, v5
	s_mov_b32 s56, 0
	v_mul_lo_u32 v4, v3, s24
	v_add_u32_e32 v9, 1, v3
	v_sub_u32_e32 v2, v2, v4
	v_cmp_le_u32_e32 vcc, s24, v2
	v_subrev_u32_e32 v4, s24, v2
	v_cndmask_b32_e32 v3, v3, v9, vcc
	v_cndmask_b32_e32 v2, v2, v4, vcc
	v_add_u32_e32 v4, 1, v3
	v_cmp_le_u32_e32 vcc, s24, v2
	v_cndmask_b32_e32 v2, v3, v4, vcc
	v_xor_b32_e32 v2, v2, v5
	v_sub_u32_e32 v2, v2, v5
	v_sub_u32_e32 v3, 0, v2
	v_max_i32_e32 v3, v2, v3
	v_mul_hi_u32 v4, v3, v7
	v_ashrrev_i32_e32 v9, 31, v2
	v_xor_b32_e32 v9, s51, v9
	v_mul_lo_u32 v5, v4, s33
	v_add_u32_e32 v10, 1, v4
	v_sub_u32_e32 v3, v3, v5
	v_cmp_le_u32_e32 vcc, s33, v3
	v_subrev_u32_e32 v5, s33, v3
	v_cndmask_b32_e32 v4, v4, v10, vcc
	v_cndmask_b32_e32 v3, v3, v5, vcc
	v_add_u32_e32 v5, 1, v4
	v_cmp_le_u32_e32 vcc, s33, v3
	v_cndmask_b32_e32 v3, v4, v5, vcc
	v_xor_b32_e32 v3, v3, v9
	v_sub_u32_e32 v3, v3, v9
	v_sub_u32_e32 v4, 0, v3
	v_max_i32_e32 v4, v3, v4
	v_mul_hi_u32 v5, v4, v8
	v_ashrrev_i32_e32 v10, 31, v3
	v_xor_b32_e32 v10, s52, v10
	v_mul_lo_u32 v9, v5, s48
	v_add_u32_e32 v11, 1, v5
	v_sub_u32_e32 v4, v4, v9
	v_cmp_le_u32_e32 vcc, s48, v4
	v_subrev_u32_e32 v9, s48, v4
	v_cndmask_b32_e32 v5, v5, v11, vcc
	v_cndmask_b32_e32 v4, v4, v9, vcc
	v_add_u32_e32 v9, 1, v5
	v_cmp_le_u32_e32 vcc, s48, v4
	v_cndmask_b32_e32 v4, v5, v9, vcc
	v_xor_b32_e32 v4, v4, v10
	v_sub_u32_e32 v4, v4, v10
	v_mul_lo_u32 v5, v4, s25
	v_mul_lo_u32 v10, v2, s28
	v_add_u32_e32 v9, s37, v2
	v_add_u32_e32 v11, s36, v0
	v_sub_u32_e32 v5, v3, v5
	v_mul_lo_u32 v3, v3, s29
	v_mul_lo_u32 v2, v4, s27
	v_sub_u32_e32 v13, v11, v10
	v_add_u32_e32 v10, s38, v10
	v_sub_u32_e32 v4, v9, v3
	v_or_b32_e32 v14, v4, v13
	v_and_b32_e32 v14, 1, v14
	v_cmp_eq_u32_e64 s[4:5], 1, v14
	v_sub_u32_e32 v14, v11, v10
	v_add_u32_e32 v10, s38, v10
	v_ashrrev_i32_e32 v17, 1, v13
	v_sub_u32_e32 v10, v11, v10
	v_ashrrev_i32_e32 v12, 1, v4
	v_cmp_lt_i32_e64 s[6:7], -1, v17
	v_cmp_gt_i32_e64 s[8:9], s30, v17
	v_or_b32_e32 v15, v4, v14
	v_ashrrev_i32_e32 v16, 1, v14
	v_or_b32_e32 v4, v4, v10
	s_and_b64 s[46:47], s[6:7], s[8:9]
	v_cmp_lt_i32_e64 s[8:9], -1, v16
	v_cmp_gt_i32_e64 s[10:11], s30, v16
	v_and_b32_e32 v4, 1, v4
	v_add_u32_e32 v3, s39, v3
	v_and_b32_e32 v15, 1, v15
	s_and_b64 s[60:61], s[8:9], s[10:11]
	v_cmp_eq_u32_e64 s[8:9], 1, v4
	v_sub_u32_e32 v4, v9, v3
	v_cmp_eq_u32_e64 s[6:7], 1, v15
	v_ashrrev_i32_e32 v15, 1, v10
	v_or_b32_e32 v18, v4, v13
	v_cmp_lt_i32_e64 s[10:11], -1, v15
	v_cmp_gt_i32_e64 s[12:13], s30, v15
	v_and_b32_e32 v18, 1, v18
	v_add_u32_e32 v3, s39, v3
	s_and_b64 s[64:65], s[10:11], s[12:13]
	v_ashrrev_i32_e32 v11, 1, v4
	v_cmp_eq_u32_e64 s[12:13], 1, v18
	v_or_b32_e32 v18, v4, v14
	v_or_b32_e32 v4, v4, v10
	v_sub_u32_e32 v3, v9, v3
	v_and_b32_e32 v4, 1, v4
	v_or_b32_e32 v9, v3, v13
	v_cmp_gt_i32_e64 s[2:3], s31, v12
	v_cmp_gt_i32_e64 s[10:11], s31, v11
	v_and_b32_e32 v18, 1, v18
	v_cmp_eq_u32_e64 s[16:17], 1, v4
	v_ashrrev_i32_e32 v4, 1, v3
	v_and_b32_e32 v9, 1, v9
	v_cmp_gt_i32_e32 vcc, 0, v12
	s_and_b64 s[58:59], s[2:3], s[46:47]
	s_and_b64 s[62:63], s[2:3], s[60:61]
	s_and_b64 s[66:67], s[2:3], s[64:65]
	v_cmp_gt_i32_e64 s[2:3], 0, v11
	v_cmp_eq_u32_e64 s[14:15], 1, v18
	s_and_b64 s[72:73], s[10:11], s[64:65]
	v_cmp_gt_i32_e64 s[18:19], s31, v4
	v_cmp_eq_u32_e64 s[20:21], 1, v9
	v_or_b32_e32 v9, v3, v14
	v_or_b32_e32 v3, v3, v10
	s_and_b64 s[68:69], s[10:11], s[46:47]
	s_and_b64 s[70:71], s[10:11], s[60:61]
	v_cmp_gt_i32_e64 s[10:11], 0, v4
	s_and_b64 s[74:75], s[18:19], s[46:47]
	v_and_b32_e32 v3, 1, v3
	s_or_b64 s[4:5], s[4:5], vcc
	s_xor_b64 s[46:47], s[58:59], -1
	s_or_b64 s[12:13], s[12:13], s[2:3]
	s_or_b64 s[14:15], s[14:15], s[2:3]
	;; [unrolled: 1-line block ×3, first 2 shown]
	s_xor_b64 s[16:17], s[72:73], -1
	s_nor_b64 s[46:47], s[4:5], s[46:47]
	v_cmp_eq_u32_e64 s[4:5], 1, v3
	s_nor_b64 s[2:3], s[2:3], s[16:17]
	s_or_b64 s[16:17], s[20:21], s[10:11]
	v_mad_u64_u32 v[2:3], s[20:21], v5, s26, v[2:3]
	s_or_b64 s[6:7], s[6:7], vcc
	s_xor_b64 s[58:59], s[62:63], -1
	v_mul_lo_u32 v2, s31, v2
	v_and_b32_e32 v9, 1, v9
	s_nor_b64 s[6:7], s[6:7], s[58:59]
	s_or_b64 s[8:9], s[8:9], vcc
	v_add_u32_e32 v3, v4, v2
	v_mul_lo_u32 v4, s54, v5
	v_add_u32_e32 v5, v11, v2
	v_add_u32_e32 v2, v12, v2
	v_mul_lo_u32 v3, s30, v3
	v_mul_lo_u32 v5, s30, v5
	v_mul_lo_u32 v2, s30, v2
	s_xor_b64 s[58:59], s[66:67], -1
	s_and_b64 s[60:61], s[18:19], s[60:61]
	s_and_b64 s[64:65], s[18:19], s[64:65]
	v_cmp_eq_u32_e64 s[18:19], 1, v9
	s_nor_b64 s[8:9], s[8:9], s[58:59]
	s_xor_b64 s[58:59], s[68:69], -1
	s_xor_b64 s[20:21], s[74:75], -1
	s_nor_b64 s[12:13], s[12:13], s[58:59]
	s_xor_b64 s[58:59], s[70:71], -1
	s_nor_b64 s[16:17], s[16:17], s[20:21]
	s_or_b64 s[18:19], s[18:19], s[10:11]
	s_xor_b64 s[20:21], s[60:61], -1
	s_or_b64 s[4:5], s[4:5], s[10:11]
	s_xor_b64 s[10:11], s[64:65], -1
	v_add_u32_e32 v9, v15, v3
	v_add_u32_e32 v10, v16, v3
	;; [unrolled: 1-line block ×9, first 2 shown]
	v_mov_b32_e32 v2, 0
	s_nor_b64 s[14:15], s[14:15], s[58:59]
	s_nor_b64 s[18:19], s[18:19], s[20:21]
	s_nor_b64 s[4:5], s[4:5], s[10:11]
	v_mov_b32_e32 v3, 0
	s_mov_b32 s20, s26
	s_branch .LBB20_7
.LBB20_6:                               ;   in Loop: Header=BB20_7 Depth=2
	s_or_b64 exec, exec, s[10:11]
	s_add_i32 s20, s20, -1
	s_add_i32 s56, s56, s55
	s_cmp_eq_u32 s20, 0
	v_add_u32_e32 v4, s53, v4
	s_cbranch_scc1 .LBB20_3
.LBB20_7:                               ;   Parent Loop BB20_4 Depth=1
                                        ; =>  This Inner Loop Header: Depth=2
	v_ashrrev_i32_e32 v5, 31, v4
	s_and_saveexec_b64 s[10:11], s[46:47]
	s_cbranch_execnz .LBB20_16
; %bb.8:                                ;   in Loop: Header=BB20_7 Depth=2
	s_or_b64 exec, exec, s[10:11]
	s_and_saveexec_b64 s[10:11], s[6:7]
	s_cbranch_execnz .LBB20_17
.LBB20_9:                               ;   in Loop: Header=BB20_7 Depth=2
	s_or_b64 exec, exec, s[10:11]
	s_and_saveexec_b64 s[10:11], s[8:9]
	s_cbranch_execnz .LBB20_18
.LBB20_10:                              ;   in Loop: Header=BB20_7 Depth=2
	s_or_b64 exec, exec, s[10:11]
	s_and_saveexec_b64 s[10:11], s[12:13]
	s_cbranch_execnz .LBB20_19
.LBB20_11:                              ;   in Loop: Header=BB20_7 Depth=2
	s_or_b64 exec, exec, s[10:11]
	s_and_saveexec_b64 s[10:11], s[14:15]
	s_cbranch_execnz .LBB20_20
.LBB20_12:                              ;   in Loop: Header=BB20_7 Depth=2
	s_or_b64 exec, exec, s[10:11]
	s_and_saveexec_b64 s[10:11], s[2:3]
	s_cbranch_execnz .LBB20_21
.LBB20_13:                              ;   in Loop: Header=BB20_7 Depth=2
	s_or_b64 exec, exec, s[10:11]
	s_and_saveexec_b64 s[10:11], s[16:17]
	s_cbranch_execnz .LBB20_22
.LBB20_14:                              ;   in Loop: Header=BB20_7 Depth=2
	s_or_b64 exec, exec, s[10:11]
	s_and_saveexec_b64 s[10:11], s[18:19]
	s_cbranch_execnz .LBB20_23
.LBB20_15:                              ;   in Loop: Header=BB20_7 Depth=2
	s_or_b64 exec, exec, s[10:11]
	s_and_saveexec_b64 s[10:11], s[4:5]
	s_cbranch_execz .LBB20_6
	s_branch .LBB20_24
.LBB20_16:                              ;   in Loop: Header=BB20_7 Depth=2
	v_lshlrev_b64 v[19:20], 3, v[4:5]
	v_mov_b32_e32 v21, s43
	v_add_co_u32_e32 v19, vcc, s42, v19
	v_add_u32_e32 v18, s56, v17
	v_addc_co_u32_e32 v20, vcc, v21, v20, vcc
	global_load_dwordx2 v[20:21], v[19:20], off
	v_ashrrev_i32_e32 v19, 31, v18
	v_lshlrev_b64 v[18:19], 3, v[18:19]
	v_mov_b32_e32 v22, s35
	v_add_co_u32_e32 v18, vcc, s34, v18
	v_addc_co_u32_e32 v19, vcc, v22, v19, vcc
	global_load_dwordx2 v[18:19], v[18:19], off
	s_waitcnt vmcnt(0)
	v_fma_f64 v[2:3], v[20:21], v[18:19], v[2:3]
	s_or_b64 exec, exec, s[10:11]
	s_and_saveexec_b64 s[10:11], s[6:7]
	s_cbranch_execz .LBB20_9
.LBB20_17:                              ;   in Loop: Header=BB20_7 Depth=2
	v_lshlrev_b64 v[19:20], 3, v[4:5]
	v_mov_b32_e32 v21, s43
	v_add_co_u32_e32 v19, vcc, s42, v19
	v_add_u32_e32 v18, s56, v16
	v_addc_co_u32_e32 v20, vcc, v21, v20, vcc
	global_load_dwordx2 v[20:21], v[19:20], off offset:8
	v_ashrrev_i32_e32 v19, 31, v18
	v_lshlrev_b64 v[18:19], 3, v[18:19]
	v_mov_b32_e32 v22, s35
	v_add_co_u32_e32 v18, vcc, s34, v18
	v_addc_co_u32_e32 v19, vcc, v22, v19, vcc
	global_load_dwordx2 v[18:19], v[18:19], off
	s_waitcnt vmcnt(0)
	v_fma_f64 v[2:3], v[20:21], v[18:19], v[2:3]
	s_or_b64 exec, exec, s[10:11]
	s_and_saveexec_b64 s[10:11], s[8:9]
	s_cbranch_execz .LBB20_10
.LBB20_18:                              ;   in Loop: Header=BB20_7 Depth=2
	v_lshlrev_b64 v[19:20], 3, v[4:5]
	v_mov_b32_e32 v21, s43
	v_add_co_u32_e32 v19, vcc, s42, v19
	v_add_u32_e32 v18, s56, v15
	v_addc_co_u32_e32 v20, vcc, v21, v20, vcc
	global_load_dwordx2 v[20:21], v[19:20], off offset:16
	v_ashrrev_i32_e32 v19, 31, v18
	v_lshlrev_b64 v[18:19], 3, v[18:19]
	v_mov_b32_e32 v22, s35
	v_add_co_u32_e32 v18, vcc, s34, v18
	v_addc_co_u32_e32 v19, vcc, v22, v19, vcc
	global_load_dwordx2 v[18:19], v[18:19], off
	s_waitcnt vmcnt(0)
	v_fma_f64 v[2:3], v[20:21], v[18:19], v[2:3]
	s_or_b64 exec, exec, s[10:11]
	s_and_saveexec_b64 s[10:11], s[12:13]
	s_cbranch_execz .LBB20_11
.LBB20_19:                              ;   in Loop: Header=BB20_7 Depth=2
	v_lshlrev_b64 v[19:20], 3, v[4:5]
	v_mov_b32_e32 v21, s43
	v_add_co_u32_e32 v19, vcc, s42, v19
	v_add_u32_e32 v18, s56, v14
	v_addc_co_u32_e32 v20, vcc, v21, v20, vcc
	global_load_dwordx2 v[20:21], v[19:20], off offset:24
	v_ashrrev_i32_e32 v19, 31, v18
	v_lshlrev_b64 v[18:19], 3, v[18:19]
	v_mov_b32_e32 v22, s35
	v_add_co_u32_e32 v18, vcc, s34, v18
	v_addc_co_u32_e32 v19, vcc, v22, v19, vcc
	global_load_dwordx2 v[18:19], v[18:19], off
	s_waitcnt vmcnt(0)
	v_fma_f64 v[2:3], v[20:21], v[18:19], v[2:3]
	s_or_b64 exec, exec, s[10:11]
	s_and_saveexec_b64 s[10:11], s[14:15]
	s_cbranch_execz .LBB20_12
.LBB20_20:                              ;   in Loop: Header=BB20_7 Depth=2
	v_lshlrev_b64 v[19:20], 3, v[4:5]
	v_mov_b32_e32 v21, s43
	v_add_co_u32_e32 v19, vcc, s42, v19
	v_add_u32_e32 v18, s56, v13
	v_addc_co_u32_e32 v20, vcc, v21, v20, vcc
	global_load_dwordx2 v[20:21], v[19:20], off offset:32
	v_ashrrev_i32_e32 v19, 31, v18
	v_lshlrev_b64 v[18:19], 3, v[18:19]
	v_mov_b32_e32 v22, s35
	v_add_co_u32_e32 v18, vcc, s34, v18
	v_addc_co_u32_e32 v19, vcc, v22, v19, vcc
	global_load_dwordx2 v[18:19], v[18:19], off
	s_waitcnt vmcnt(0)
	v_fma_f64 v[2:3], v[20:21], v[18:19], v[2:3]
	s_or_b64 exec, exec, s[10:11]
	s_and_saveexec_b64 s[10:11], s[2:3]
	s_cbranch_execz .LBB20_13
.LBB20_21:                              ;   in Loop: Header=BB20_7 Depth=2
	v_lshlrev_b64 v[19:20], 3, v[4:5]
	v_mov_b32_e32 v21, s43
	v_add_co_u32_e32 v19, vcc, s42, v19
	v_add_u32_e32 v18, s56, v12
	v_addc_co_u32_e32 v20, vcc, v21, v20, vcc
	global_load_dwordx2 v[20:21], v[19:20], off offset:40
	v_ashrrev_i32_e32 v19, 31, v18
	v_lshlrev_b64 v[18:19], 3, v[18:19]
	v_mov_b32_e32 v22, s35
	v_add_co_u32_e32 v18, vcc, s34, v18
	v_addc_co_u32_e32 v19, vcc, v22, v19, vcc
	global_load_dwordx2 v[18:19], v[18:19], off
	s_waitcnt vmcnt(0)
	v_fma_f64 v[2:3], v[20:21], v[18:19], v[2:3]
	s_or_b64 exec, exec, s[10:11]
	s_and_saveexec_b64 s[10:11], s[16:17]
	s_cbranch_execz .LBB20_14
.LBB20_22:                              ;   in Loop: Header=BB20_7 Depth=2
	v_lshlrev_b64 v[19:20], 3, v[4:5]
	v_mov_b32_e32 v21, s43
	v_add_co_u32_e32 v19, vcc, s42, v19
	v_add_u32_e32 v18, s56, v11
	v_addc_co_u32_e32 v20, vcc, v21, v20, vcc
	global_load_dwordx2 v[20:21], v[19:20], off offset:48
	v_ashrrev_i32_e32 v19, 31, v18
	v_lshlrev_b64 v[18:19], 3, v[18:19]
	v_mov_b32_e32 v22, s35
	v_add_co_u32_e32 v18, vcc, s34, v18
	v_addc_co_u32_e32 v19, vcc, v22, v19, vcc
	global_load_dwordx2 v[18:19], v[18:19], off
	s_waitcnt vmcnt(0)
	v_fma_f64 v[2:3], v[20:21], v[18:19], v[2:3]
	s_or_b64 exec, exec, s[10:11]
	s_and_saveexec_b64 s[10:11], s[18:19]
	s_cbranch_execz .LBB20_15
.LBB20_23:                              ;   in Loop: Header=BB20_7 Depth=2
	v_lshlrev_b64 v[19:20], 3, v[4:5]
	v_mov_b32_e32 v21, s43
	v_add_co_u32_e32 v19, vcc, s42, v19
	v_add_u32_e32 v18, s56, v10
	v_addc_co_u32_e32 v20, vcc, v21, v20, vcc
	global_load_dwordx2 v[20:21], v[19:20], off offset:56
	v_ashrrev_i32_e32 v19, 31, v18
	v_lshlrev_b64 v[18:19], 3, v[18:19]
	v_mov_b32_e32 v22, s35
	v_add_co_u32_e32 v18, vcc, s34, v18
	v_addc_co_u32_e32 v19, vcc, v22, v19, vcc
	global_load_dwordx2 v[18:19], v[18:19], off
	s_waitcnt vmcnt(0)
	v_fma_f64 v[2:3], v[20:21], v[18:19], v[2:3]
	s_or_b64 exec, exec, s[10:11]
	s_and_saveexec_b64 s[10:11], s[4:5]
	s_cbranch_execz .LBB20_6
.LBB20_24:                              ;   in Loop: Header=BB20_7 Depth=2
	v_lshlrev_b64 v[19:20], 3, v[4:5]
	v_mov_b32_e32 v5, s43
	v_add_co_u32_e32 v19, vcc, s42, v19
	v_add_u32_e32 v18, s56, v9
	v_addc_co_u32_e32 v20, vcc, v5, v20, vcc
	global_load_dwordx2 v[20:21], v[19:20], off offset:64
	v_ashrrev_i32_e32 v19, 31, v18
	v_lshlrev_b64 v[18:19], 3, v[18:19]
	v_mov_b32_e32 v5, s35
	v_add_co_u32_e32 v18, vcc, s34, v18
	v_addc_co_u32_e32 v19, vcc, v5, v19, vcc
	global_load_dwordx2 v[18:19], v[18:19], off
	s_waitcnt vmcnt(0)
	v_fma_f64 v[2:3], v[20:21], v[18:19], v[2:3]
	s_branch .LBB20_6
.LBB20_25:
	s_endpgm
	.section	.rodata,"a",@progbits
	.p2align	6, 0x0
	.amdhsa_kernel _ZN2at6native12_GLOBAL__N_132conv_depthwise2d_backward_kernelILi3ELi2EdiEEvN5torch10headeronly6detail27GenericPackedTensorAccessorINS5_14TensorAccessorIN3c108ArrayRefIlEEKT1_Lm3ENS4_16DefaultPtrTraitsEiEENS_6detail16IndexBoundsCheckILm4EiEESC_Lm4ESD_iEENS6_INS7_ISA_SB_Lm3ESD_iEESH_SB_Lm4ESD_iEESI_T2_iiiiiiiiiiiiiii
		.amdhsa_group_segment_fixed_size 0
		.amdhsa_private_segment_fixed_size 0
		.amdhsa_kernarg_size 440
		.amdhsa_user_sgpr_count 6
		.amdhsa_user_sgpr_private_segment_buffer 1
		.amdhsa_user_sgpr_dispatch_ptr 0
		.amdhsa_user_sgpr_queue_ptr 0
		.amdhsa_user_sgpr_kernarg_segment_ptr 1
		.amdhsa_user_sgpr_dispatch_id 0
		.amdhsa_user_sgpr_flat_scratch_init 0
		.amdhsa_user_sgpr_private_segment_size 0
		.amdhsa_uses_dynamic_stack 0
		.amdhsa_system_sgpr_private_segment_wavefront_offset 0
		.amdhsa_system_sgpr_workgroup_id_x 1
		.amdhsa_system_sgpr_workgroup_id_y 0
		.amdhsa_system_sgpr_workgroup_id_z 0
		.amdhsa_system_sgpr_workgroup_info 0
		.amdhsa_system_vgpr_workitem_id 0
		.amdhsa_next_free_vgpr 23
		.amdhsa_next_free_sgpr 76
		.amdhsa_reserve_vcc 1
		.amdhsa_reserve_flat_scratch 0
		.amdhsa_float_round_mode_32 0
		.amdhsa_float_round_mode_16_64 0
		.amdhsa_float_denorm_mode_32 3
		.amdhsa_float_denorm_mode_16_64 3
		.amdhsa_dx10_clamp 1
		.amdhsa_ieee_mode 1
		.amdhsa_fp16_overflow 0
		.amdhsa_exception_fp_ieee_invalid_op 0
		.amdhsa_exception_fp_denorm_src 0
		.amdhsa_exception_fp_ieee_div_zero 0
		.amdhsa_exception_fp_ieee_overflow 0
		.amdhsa_exception_fp_ieee_underflow 0
		.amdhsa_exception_fp_ieee_inexact 0
		.amdhsa_exception_int_div_zero 0
	.end_amdhsa_kernel
	.section	.text._ZN2at6native12_GLOBAL__N_132conv_depthwise2d_backward_kernelILi3ELi2EdiEEvN5torch10headeronly6detail27GenericPackedTensorAccessorINS5_14TensorAccessorIN3c108ArrayRefIlEEKT1_Lm3ENS4_16DefaultPtrTraitsEiEENS_6detail16IndexBoundsCheckILm4EiEESC_Lm4ESD_iEENS6_INS7_ISA_SB_Lm3ESD_iEESH_SB_Lm4ESD_iEESI_T2_iiiiiiiiiiiiiii,"axG",@progbits,_ZN2at6native12_GLOBAL__N_132conv_depthwise2d_backward_kernelILi3ELi2EdiEEvN5torch10headeronly6detail27GenericPackedTensorAccessorINS5_14TensorAccessorIN3c108ArrayRefIlEEKT1_Lm3ENS4_16DefaultPtrTraitsEiEENS_6detail16IndexBoundsCheckILm4EiEESC_Lm4ESD_iEENS6_INS7_ISA_SB_Lm3ESD_iEESH_SB_Lm4ESD_iEESI_T2_iiiiiiiiiiiiiii,comdat
.Lfunc_end20:
	.size	_ZN2at6native12_GLOBAL__N_132conv_depthwise2d_backward_kernelILi3ELi2EdiEEvN5torch10headeronly6detail27GenericPackedTensorAccessorINS5_14TensorAccessorIN3c108ArrayRefIlEEKT1_Lm3ENS4_16DefaultPtrTraitsEiEENS_6detail16IndexBoundsCheckILm4EiEESC_Lm4ESD_iEENS6_INS7_ISA_SB_Lm3ESD_iEESH_SB_Lm4ESD_iEESI_T2_iiiiiiiiiiiiiii, .Lfunc_end20-_ZN2at6native12_GLOBAL__N_132conv_depthwise2d_backward_kernelILi3ELi2EdiEEvN5torch10headeronly6detail27GenericPackedTensorAccessorINS5_14TensorAccessorIN3c108ArrayRefIlEEKT1_Lm3ENS4_16DefaultPtrTraitsEiEENS_6detail16IndexBoundsCheckILm4EiEESC_Lm4ESD_iEENS6_INS7_ISA_SB_Lm3ESD_iEESH_SB_Lm4ESD_iEESI_T2_iiiiiiiiiiiiiii
                                        ; -- End function
	.set _ZN2at6native12_GLOBAL__N_132conv_depthwise2d_backward_kernelILi3ELi2EdiEEvN5torch10headeronly6detail27GenericPackedTensorAccessorINS5_14TensorAccessorIN3c108ArrayRefIlEEKT1_Lm3ENS4_16DefaultPtrTraitsEiEENS_6detail16IndexBoundsCheckILm4EiEESC_Lm4ESD_iEENS6_INS7_ISA_SB_Lm3ESD_iEESH_SB_Lm4ESD_iEESI_T2_iiiiiiiiiiiiiii.num_vgpr, 23
	.set _ZN2at6native12_GLOBAL__N_132conv_depthwise2d_backward_kernelILi3ELi2EdiEEvN5torch10headeronly6detail27GenericPackedTensorAccessorINS5_14TensorAccessorIN3c108ArrayRefIlEEKT1_Lm3ENS4_16DefaultPtrTraitsEiEENS_6detail16IndexBoundsCheckILm4EiEESC_Lm4ESD_iEENS6_INS7_ISA_SB_Lm3ESD_iEESH_SB_Lm4ESD_iEESI_T2_iiiiiiiiiiiiiii.num_agpr, 0
	.set _ZN2at6native12_GLOBAL__N_132conv_depthwise2d_backward_kernelILi3ELi2EdiEEvN5torch10headeronly6detail27GenericPackedTensorAccessorINS5_14TensorAccessorIN3c108ArrayRefIlEEKT1_Lm3ENS4_16DefaultPtrTraitsEiEENS_6detail16IndexBoundsCheckILm4EiEESC_Lm4ESD_iEENS6_INS7_ISA_SB_Lm3ESD_iEESH_SB_Lm4ESD_iEESI_T2_iiiiiiiiiiiiiii.numbered_sgpr, 76
	.set _ZN2at6native12_GLOBAL__N_132conv_depthwise2d_backward_kernelILi3ELi2EdiEEvN5torch10headeronly6detail27GenericPackedTensorAccessorINS5_14TensorAccessorIN3c108ArrayRefIlEEKT1_Lm3ENS4_16DefaultPtrTraitsEiEENS_6detail16IndexBoundsCheckILm4EiEESC_Lm4ESD_iEENS6_INS7_ISA_SB_Lm3ESD_iEESH_SB_Lm4ESD_iEESI_T2_iiiiiiiiiiiiiii.num_named_barrier, 0
	.set _ZN2at6native12_GLOBAL__N_132conv_depthwise2d_backward_kernelILi3ELi2EdiEEvN5torch10headeronly6detail27GenericPackedTensorAccessorINS5_14TensorAccessorIN3c108ArrayRefIlEEKT1_Lm3ENS4_16DefaultPtrTraitsEiEENS_6detail16IndexBoundsCheckILm4EiEESC_Lm4ESD_iEENS6_INS7_ISA_SB_Lm3ESD_iEESH_SB_Lm4ESD_iEESI_T2_iiiiiiiiiiiiiii.private_seg_size, 0
	.set _ZN2at6native12_GLOBAL__N_132conv_depthwise2d_backward_kernelILi3ELi2EdiEEvN5torch10headeronly6detail27GenericPackedTensorAccessorINS5_14TensorAccessorIN3c108ArrayRefIlEEKT1_Lm3ENS4_16DefaultPtrTraitsEiEENS_6detail16IndexBoundsCheckILm4EiEESC_Lm4ESD_iEENS6_INS7_ISA_SB_Lm3ESD_iEESH_SB_Lm4ESD_iEESI_T2_iiiiiiiiiiiiiii.uses_vcc, 1
	.set _ZN2at6native12_GLOBAL__N_132conv_depthwise2d_backward_kernelILi3ELi2EdiEEvN5torch10headeronly6detail27GenericPackedTensorAccessorINS5_14TensorAccessorIN3c108ArrayRefIlEEKT1_Lm3ENS4_16DefaultPtrTraitsEiEENS_6detail16IndexBoundsCheckILm4EiEESC_Lm4ESD_iEENS6_INS7_ISA_SB_Lm3ESD_iEESH_SB_Lm4ESD_iEESI_T2_iiiiiiiiiiiiiii.uses_flat_scratch, 0
	.set _ZN2at6native12_GLOBAL__N_132conv_depthwise2d_backward_kernelILi3ELi2EdiEEvN5torch10headeronly6detail27GenericPackedTensorAccessorINS5_14TensorAccessorIN3c108ArrayRefIlEEKT1_Lm3ENS4_16DefaultPtrTraitsEiEENS_6detail16IndexBoundsCheckILm4EiEESC_Lm4ESD_iEENS6_INS7_ISA_SB_Lm3ESD_iEESH_SB_Lm4ESD_iEESI_T2_iiiiiiiiiiiiiii.has_dyn_sized_stack, 0
	.set _ZN2at6native12_GLOBAL__N_132conv_depthwise2d_backward_kernelILi3ELi2EdiEEvN5torch10headeronly6detail27GenericPackedTensorAccessorINS5_14TensorAccessorIN3c108ArrayRefIlEEKT1_Lm3ENS4_16DefaultPtrTraitsEiEENS_6detail16IndexBoundsCheckILm4EiEESC_Lm4ESD_iEENS6_INS7_ISA_SB_Lm3ESD_iEESH_SB_Lm4ESD_iEESI_T2_iiiiiiiiiiiiiii.has_recursion, 0
	.set _ZN2at6native12_GLOBAL__N_132conv_depthwise2d_backward_kernelILi3ELi2EdiEEvN5torch10headeronly6detail27GenericPackedTensorAccessorINS5_14TensorAccessorIN3c108ArrayRefIlEEKT1_Lm3ENS4_16DefaultPtrTraitsEiEENS_6detail16IndexBoundsCheckILm4EiEESC_Lm4ESD_iEENS6_INS7_ISA_SB_Lm3ESD_iEESH_SB_Lm4ESD_iEESI_T2_iiiiiiiiiiiiiii.has_indirect_call, 0
	.section	.AMDGPU.csdata,"",@progbits
; Kernel info:
; codeLenInByte = 2176
; TotalNumSgprs: 80
; NumVgprs: 23
; ScratchSize: 0
; MemoryBound: 0
; FloatMode: 240
; IeeeMode: 1
; LDSByteSize: 0 bytes/workgroup (compile time only)
; SGPRBlocks: 9
; VGPRBlocks: 5
; NumSGPRsForWavesPerEU: 80
; NumVGPRsForWavesPerEU: 23
; Occupancy: 10
; WaveLimiterHint : 0
; COMPUTE_PGM_RSRC2:SCRATCH_EN: 0
; COMPUTE_PGM_RSRC2:USER_SGPR: 6
; COMPUTE_PGM_RSRC2:TRAP_HANDLER: 0
; COMPUTE_PGM_RSRC2:TGID_X_EN: 1
; COMPUTE_PGM_RSRC2:TGID_Y_EN: 0
; COMPUTE_PGM_RSRC2:TGID_Z_EN: 0
; COMPUTE_PGM_RSRC2:TIDIG_COMP_CNT: 0
	.section	.text._ZN2at6native12_GLOBAL__N_132conv_depthwise2d_backward_kernelILi3ELi0EdiEEvN5torch10headeronly6detail27GenericPackedTensorAccessorINS5_14TensorAccessorIN3c108ArrayRefIlEEKT1_Lm3ENS4_16DefaultPtrTraitsEiEENS_6detail16IndexBoundsCheckILm4EiEESC_Lm4ESD_iEENS6_INS7_ISA_SB_Lm3ESD_iEESH_SB_Lm4ESD_iEESI_T2_iiiiiiiiiiiiiii,"axG",@progbits,_ZN2at6native12_GLOBAL__N_132conv_depthwise2d_backward_kernelILi3ELi0EdiEEvN5torch10headeronly6detail27GenericPackedTensorAccessorINS5_14TensorAccessorIN3c108ArrayRefIlEEKT1_Lm3ENS4_16DefaultPtrTraitsEiEENS_6detail16IndexBoundsCheckILm4EiEESC_Lm4ESD_iEENS6_INS7_ISA_SB_Lm3ESD_iEESH_SB_Lm4ESD_iEESI_T2_iiiiiiiiiiiiiii,comdat
	.globl	_ZN2at6native12_GLOBAL__N_132conv_depthwise2d_backward_kernelILi3ELi0EdiEEvN5torch10headeronly6detail27GenericPackedTensorAccessorINS5_14TensorAccessorIN3c108ArrayRefIlEEKT1_Lm3ENS4_16DefaultPtrTraitsEiEENS_6detail16IndexBoundsCheckILm4EiEESC_Lm4ESD_iEENS6_INS7_ISA_SB_Lm3ESD_iEESH_SB_Lm4ESD_iEESI_T2_iiiiiiiiiiiiiii ; -- Begin function _ZN2at6native12_GLOBAL__N_132conv_depthwise2d_backward_kernelILi3ELi0EdiEEvN5torch10headeronly6detail27GenericPackedTensorAccessorINS5_14TensorAccessorIN3c108ArrayRefIlEEKT1_Lm3ENS4_16DefaultPtrTraitsEiEENS_6detail16IndexBoundsCheckILm4EiEESC_Lm4ESD_iEENS6_INS7_ISA_SB_Lm3ESD_iEESH_SB_Lm4ESD_iEESI_T2_iiiiiiiiiiiiiii
	.p2align	8
	.type	_ZN2at6native12_GLOBAL__N_132conv_depthwise2d_backward_kernelILi3ELi0EdiEEvN5torch10headeronly6detail27GenericPackedTensorAccessorINS5_14TensorAccessorIN3c108ArrayRefIlEEKT1_Lm3ENS4_16DefaultPtrTraitsEiEENS_6detail16IndexBoundsCheckILm4EiEESC_Lm4ESD_iEENS6_INS7_ISA_SB_Lm3ESD_iEESH_SB_Lm4ESD_iEESI_T2_iiiiiiiiiiiiiii,@function
_ZN2at6native12_GLOBAL__N_132conv_depthwise2d_backward_kernelILi3ELi0EdiEEvN5torch10headeronly6detail27GenericPackedTensorAccessorINS5_14TensorAccessorIN3c108ArrayRefIlEEKT1_Lm3ENS4_16DefaultPtrTraitsEiEENS_6detail16IndexBoundsCheckILm4EiEESC_Lm4ESD_iEENS6_INS7_ISA_SB_Lm3ESD_iEESH_SB_Lm4ESD_iEESI_T2_iiiiiiiiiiiiiii: ; @_ZN2at6native12_GLOBAL__N_132conv_depthwise2d_backward_kernelILi3ELi0EdiEEvN5torch10headeronly6detail27GenericPackedTensorAccessorINS5_14TensorAccessorIN3c108ArrayRefIlEEKT1_Lm3ENS4_16DefaultPtrTraitsEiEENS_6detail16IndexBoundsCheckILm4EiEESC_Lm4ESD_iEENS6_INS7_ISA_SB_Lm3ESD_iEESH_SB_Lm4ESD_iEESI_T2_iiiiiiiiiiiiiii
; %bb.0:
	s_load_dword s2, s[4:5], 0xc4
	s_load_dwordx16 s[36:51], s[4:5], 0x78
	s_add_u32 s0, s4, 0xb8
	s_addc_u32 s1, s5, 0
	v_mov_b32_e32 v1, 0
	s_waitcnt lgkmcnt(0)
	s_and_b32 s2, s2, 0xffff
	v_mov_b32_e32 v2, s6
	v_mad_u64_u32 v[0:1], s[6:7], s2, v2, v[0:1]
	s_ashr_i32 s29, s36, 31
	s_mov_b32 s28, s36
	v_cmp_gt_i64_e32 vcc, s[28:29], v[0:1]
	s_and_saveexec_b64 s[6:7], vcc
	s_cbranch_execz .LBB21_77
; %bb.1:
	s_cmp_gt_i32 s38, 0
	s_load_dword s3, s[0:1], 0x0
	s_cselect_b64 s[0:1], -1, 0
	s_abs_i32 s33, s40
	v_cvt_f32_u32_e32 v2, s33
	s_abs_i32 s36, s41
	v_cvt_f32_u32_e32 v3, s36
	s_waitcnt lgkmcnt(0)
	s_mul_i32 s78, s3, s2
	v_rcp_iflag_f32_e32 v2, v2
	s_sub_i32 s2, 0, s33
	v_rcp_iflag_f32_e32 v3, v3
	s_abs_i32 s80, s37
	v_mul_f32_e32 v2, 0x4f7ffffe, v2
	v_cvt_u32_f32_e32 v2, v2
	v_mul_f32_e32 v3, 0x4f7ffffe, v3
	v_cvt_f32_u32_e32 v5, s80
	v_cvt_u32_f32_e32 v3, v3
	v_mul_lo_u32 v4, s2, v2
	s_sub_i32 s2, 0, s36
	v_rcp_iflag_f32_e32 v5, v5
	v_mul_lo_u32 v7, s2, v3
	v_mul_hi_u32 v4, v2, v4
	s_abs_i32 s82, s47
	s_abs_i32 s83, s46
	v_cvt_f32_u32_e32 v8, s83
	v_add_u32_e32 v6, v2, v4
	v_mul_f32_e32 v4, 0x4f7ffffe, v5
	v_cvt_f32_u32_e32 v5, s82
	v_mul_hi_u32 v2, v3, v7
	v_cvt_u32_f32_e32 v4, v4
	s_sub_i32 s2, 0, s80
	v_rcp_iflag_f32_e32 v5, v5
	v_add_u32_e32 v7, v3, v2
	v_rcp_iflag_f32_e32 v2, v8
	v_mul_lo_u32 v9, s2, v4
	v_mul_f32_e32 v5, 0x4f7ffffe, v5
	v_cvt_u32_f32_e32 v5, v5
	v_mul_f32_e32 v2, 0x4f7ffffe, v2
	v_cvt_u32_f32_e32 v2, v2
	s_sub_i32 s2, 0, s82
	v_mul_lo_u32 v8, s2, v5
	s_sub_i32 s2, 0, s83
	v_mul_hi_u32 v3, v4, v9
	v_mul_lo_u32 v9, s2, v2
	s_load_dwordx2 s[30:31], s[4:5], 0x0
	s_load_dwordx2 s[34:35], s[4:5], 0x28
	s_load_dwordx2 s[52:53], s[4:5], 0x50
	v_mul_hi_u32 v10, v5, v8
	v_add_u32_e32 v8, v4, v3
	v_mul_hi_u32 v3, v2, v9
	s_mul_i32 s87, s45, s44
	v_add_u32_e32 v9, v5, v10
	s_ashr_i32 s79, s40, 31
	v_add_u32_e32 v10, v2, v3
	v_cndmask_b32_e64 v2, 0, 1, s[0:1]
	s_ashr_i32 s81, s41, 31
	s_ashr_i32 s84, s37, 31
	;; [unrolled: 1-line block ×4, first 2 shown]
	s_mul_i32 s88, s87, s38
	s_mul_i32 s89, s43, s42
	s_mov_b64 s[44:45], 0
	v_cmp_ne_u32_e64 s[0:1], 1, v2
	s_branch .LBB21_4
.LBB21_2:                               ;   in Loop: Header=BB21_4 Depth=1
	v_mov_b32_e32 v2, 0
	v_mov_b32_e32 v3, 0
.LBB21_3:                               ;   in Loop: Header=BB21_4 Depth=1
	v_lshlrev_b64 v[4:5], 3, v[0:1]
	v_add_co_u32_e32 v0, vcc, s78, v0
	v_addc_co_u32_e32 v1, vcc, 0, v1, vcc
	v_cmp_le_i64_e32 vcc, s[28:29], v[0:1]
	s_waitcnt lgkmcnt(0)
	v_mov_b32_e32 v11, s35
	v_add_co_u32_e64 v4, s[2:3], s34, v4
	v_addc_co_u32_e64 v5, s[2:3], v11, v5, s[2:3]
	s_or_b64 s[44:45], vcc, s[44:45]
	global_store_dwordx2 v[4:5], v[2:3], off
	s_andn2_b64 exec, exec, s[44:45]
	s_cbranch_execz .LBB21_77
.LBB21_4:                               ; =>This Loop Header: Depth=1
                                        ;     Child Loop BB21_9 Depth 2
	s_and_b64 vcc, exec, s[0:1]
	s_cbranch_vccnz .LBB21_2
; %bb.5:                                ;   in Loop: Header=BB21_4 Depth=1
	v_sub_u32_e32 v2, 0, v0
	v_max_i32_e32 v2, v0, v2
	v_mul_hi_u32 v3, v2, v6
	v_ashrrev_i32_e32 v5, 31, v0
	v_xor_b32_e32 v5, s79, v5
	s_mov_b32 s90, 0
	v_mul_lo_u32 v4, v3, s33
	v_add_u32_e32 v11, 1, v3
	s_mov_b32 s91, s38
	v_sub_u32_e32 v2, v2, v4
	v_subrev_u32_e32 v4, s33, v2
	v_cmp_le_u32_e32 vcc, s33, v2
	v_cndmask_b32_e32 v3, v3, v11, vcc
	v_cndmask_b32_e32 v2, v2, v4, vcc
	v_add_u32_e32 v4, 1, v3
	v_cmp_le_u32_e32 vcc, s33, v2
	v_cndmask_b32_e32 v2, v3, v4, vcc
	v_xor_b32_e32 v2, v2, v5
	v_sub_u32_e32 v5, v2, v5
	v_sub_u32_e32 v2, 0, v5
	v_max_i32_e32 v2, v5, v2
	v_mul_hi_u32 v3, v2, v7
	v_ashrrev_i32_e32 v11, 31, v5
	v_xor_b32_e32 v11, s81, v11
	v_mul_lo_u32 v4, v3, s36
	v_add_u32_e32 v12, 1, v3
	v_sub_u32_e32 v2, v2, v4
	v_subrev_u32_e32 v4, s36, v2
	v_cmp_le_u32_e32 vcc, s36, v2
	v_cndmask_b32_e32 v3, v3, v12, vcc
	v_cndmask_b32_e32 v2, v2, v4, vcc
	v_add_u32_e32 v4, 1, v3
	v_cmp_le_u32_e32 vcc, s36, v2
	v_cndmask_b32_e32 v2, v3, v4, vcc
	v_xor_b32_e32 v2, v2, v11
	v_sub_u32_e32 v4, v2, v11
	v_sub_u32_e32 v2, 0, v4
	v_max_i32_e32 v2, v4, v2
	v_mul_hi_u32 v3, v2, v8
	v_mul_lo_u32 v13, v4, s41
	v_ashrrev_i32_e32 v11, 31, v4
	v_xor_b32_e32 v11, s84, v11
	v_mul_lo_u32 v12, v3, s80
	v_add_u32_e32 v14, 1, v3
	v_sub_u32_e32 v2, v2, v12
	v_cmp_le_u32_e32 vcc, s80, v2
	v_subrev_u32_e32 v12, s80, v2
	v_cndmask_b32_e32 v3, v3, v14, vcc
	v_add_u32_e32 v14, s49, v5
	v_cndmask_b32_e32 v2, v2, v12, vcc
	v_sub_u32_e32 v12, v14, v13
	v_sub_u32_e32 v15, 0, v12
	v_max_i32_e32 v15, v12, v15
	v_mul_hi_u32 v16, v15, v9
	v_add_u32_e32 v17, 1, v3
	v_cmp_le_u32_e32 vcc, s80, v2
	v_cndmask_b32_e32 v2, v3, v17, vcc
	v_mul_lo_u32 v3, v16, s82
	v_xor_b32_e32 v2, v2, v11
	v_sub_u32_e32 v11, v2, v11
	v_mul_lo_u32 v17, v11, s37
	v_sub_u32_e32 v2, v15, v3
	v_add_u32_e32 v3, 1, v16
	v_cmp_le_u32_e32 vcc, s82, v2
	v_subrev_u32_e32 v15, s82, v2
	v_cndmask_b32_e32 v3, v16, v3, vcc
	v_cndmask_b32_e32 v15, v2, v15, vcc
	v_ashrrev_i32_e32 v2, 31, v12
	v_add_u32_e32 v16, 1, v3
	v_cmp_le_u32_e32 vcc, s82, v15
	v_xor_b32_e32 v2, s85, v2
	v_cndmask_b32_e32 v3, v3, v16, vcc
	v_xor_b32_e32 v3, v3, v2
	v_sub_u32_e32 v20, v3, v2
	v_mul_lo_u32 v15, v20, s47
	v_add_u32_e32 v13, s51, v13
	v_sub_u32_e32 v21, v14, v13
	v_sub_u32_e32 v4, v4, v17
	;; [unrolled: 1-line block ×4, first 2 shown]
	v_max_i32_e32 v17, v21, v15
	v_mul_hi_u32 v19, v17, v9
	v_mul_lo_u32 v5, v5, s40
	v_add_u32_e32 v16, s48, v0
	v_add_u32_e32 v13, s51, v13
	v_mul_lo_u32 v22, v19, s82
	v_sub_u32_e32 v18, v16, v5
	v_add_u32_e32 v5, s50, v5
	v_sub_u32_e32 v15, v16, v5
	v_add_u32_e32 v5, s50, v5
	v_cmp_eq_u32_e32 vcc, 0, v12
	v_sub_u32_e32 v12, v16, v5
	v_sub_u32_e32 v5, v17, v22
	v_sub_u32_e32 v22, v14, v13
	v_add_u32_e32 v16, 1, v19
	v_cmp_le_u32_e64 s[2:3], s82, v5
	v_sub_u32_e32 v13, 0, v22
	v_cndmask_b32_e64 v16, v19, v16, s[2:3]
	v_max_i32_e32 v19, v22, v13
	v_mul_hi_u32 v23, v19, v9
	v_subrev_u32_e32 v17, s82, v5
	v_cndmask_b32_e64 v5, v5, v17, s[2:3]
	v_add_u32_e32 v17, 1, v16
	v_cmp_le_u32_e64 s[2:3], s82, v5
	v_cndmask_b32_e64 v5, v16, v17, s[2:3]
	v_mul_lo_u32 v16, v23, s82
	v_add_u32_e32 v17, 1, v23
	v_ashrrev_i32_e32 v13, 31, v21
	v_xor_b32_e32 v13, s85, v13
	v_sub_u32_e32 v16, v19, v16
	v_cmp_le_u32_e64 s[2:3], s82, v16
	v_subrev_u32_e32 v19, s82, v16
	v_cndmask_b32_e64 v17, v23, v17, s[2:3]
	v_cndmask_b32_e64 v16, v16, v19, s[2:3]
	v_add_u32_e32 v19, 1, v17
	v_cmp_le_u32_e64 s[2:3], s82, v16
	v_xor_b32_e32 v14, v5, v13
	v_cndmask_b32_e64 v17, v17, v19, s[2:3]
	v_sub_u32_e32 v19, 0, v18
	v_sub_u32_e32 v5, v14, v13
	v_ashrrev_i32_e32 v16, 31, v22
	v_max_i32_e32 v23, v18, v19
	v_mul_lo_u32 v24, v5, s47
	v_xor_b32_e32 v16, s85, v16
	v_mul_hi_u32 v25, v23, v10
	v_xor_b32_e32 v17, v17, v16
	v_sub_u32_e32 v19, v17, v16
	v_mul_lo_u32 v26, v19, s47
	v_sub_u32_e32 v21, v21, v24
	v_mul_lo_u32 v24, v25, s83
	v_cmp_eq_u32_e64 s[2:3], 0, v21
	v_sub_u32_e32 v21, v22, v26
	v_cmp_eq_u32_e64 s[4:5], 0, v21
	v_sub_u32_e32 v21, v23, v24
	v_subrev_u32_e32 v22, s83, v21
	v_cmp_le_u32_e64 s[10:11], s83, v21
	v_cndmask_b32_e64 v21, v21, v22, s[10:11]
	v_subrev_u32_e32 v22, s83, v21
	v_cmp_le_u32_e64 s[14:15], s83, v21
	v_cndmask_b32_e64 v21, v21, v22, s[14:15]
	v_ashrrev_i32_e32 v22, 31, v18
	v_xor_b32_e32 v21, v21, v22
	v_sub_u32_e32 v21, v21, v22
	v_cmp_eq_u32_e64 s[6:7], 0, v21
	v_sub_u32_e32 v21, 0, v15
	v_max_i32_e32 v21, v15, v21
	v_mul_hi_u32 v23, v21, v10
	v_cmp_lt_i32_e64 s[8:9], -1, v20
	v_cmp_gt_i32_e64 s[12:13], s43, v20
	v_add_u32_e32 v20, 1, v25
	v_mul_lo_u32 v24, v23, s83
	v_cndmask_b32_e64 v20, v25, v20, s[10:11]
	v_add_u32_e32 v25, 1, v20
	v_cndmask_b32_e64 v25, v20, v25, s[14:15]
	v_sub_u32_e32 v20, v21, v24
	v_sub_u32_e32 v24, 0, v12
	v_max_i32_e32 v24, v12, v24
	v_mul_hi_u32 v26, v24, v10
	v_subrev_u32_e32 v21, s83, v20
	v_cmp_le_u32_e64 s[10:11], s83, v20
	v_cndmask_b32_e64 v20, v20, v21, s[10:11]
	v_subrev_u32_e32 v21, s83, v20
	v_cmp_le_u32_e64 s[14:15], s83, v20
	v_cndmask_b32_e64 v27, v20, v21, s[14:15]
	v_mul_lo_u32 v21, v26, s83
	v_add_u32_e32 v20, 1, v23
	v_cndmask_b32_e64 v20, v23, v20, s[10:11]
	v_add_u32_e32 v23, 1, v20
	v_cndmask_b32_e64 v28, v20, v23, s[14:15]
	v_sub_u32_e32 v20, v24, v21
	v_subrev_u32_e32 v21, s83, v20
	v_cmp_le_u32_e64 s[10:11], s83, v20
	v_cndmask_b32_e64 v20, v20, v21, s[10:11]
	v_subrev_u32_e32 v21, s83, v20
	v_cmp_le_u32_e64 s[14:15], s83, v20
	v_cndmask_b32_e64 v24, v20, v21, s[14:15]
	v_add_u32_e32 v20, 1, v26
	v_cndmask_b32_e64 v20, v26, v20, s[10:11]
	v_add_u32_e32 v21, 1, v20
	v_cndmask_b32_e64 v26, v20, v21, s[14:15]
	v_xor_b32_e32 v20, s86, v22
	v_xor_b32_e32 v21, v25, v20
	v_sub_u32_e32 v22, v21, v20
	v_mul_lo_u32 v23, v22, s46
	v_cmp_lt_i32_e64 s[14:15], -1, v22
	v_cmp_gt_i32_e64 s[16:17], s42, v22
	v_mul_lo_u32 v11, v11, s39
	v_sub_u32_e32 v22, v18, v23
	v_ashrrev_i32_e32 v18, 31, v15
	v_xor_b32_e32 v25, s86, v18
	v_xor_b32_e32 v23, v27, v18
	;; [unrolled: 1-line block ×3, first 2 shown]
	v_sub_u32_e32 v23, v23, v18
	v_sub_u32_e32 v18, v27, v25
	v_cmp_lt_i32_e64 s[18:19], -1, v18
	v_cmp_gt_i32_e64 s[20:21], s42, v18
	v_mul_lo_u32 v18, v18, s46
	v_cmp_lt_i32_e64 s[10:11], -1, v19
	v_cmp_gt_i32_e64 s[22:23], s43, v19
	s_and_b64 s[60:61], s[14:15], s[16:17]
	v_sub_u32_e32 v28, v15, v18
	v_mad_u64_u32 v[18:19], s[24:25], v4, s38, v[11:12]
	v_ashrrev_i32_e32 v15, 31, v12
	v_xor_b32_e32 v24, v24, v15
	v_sub_u32_e32 v24, v24, v15
	v_xor_b32_e32 v15, s86, v15
	v_xor_b32_e32 v19, v26, v15
	v_mul_lo_u32 v11, s43, v18
	v_sub_u32_e32 v18, v19, v15
	v_cmp_lt_i32_e64 s[24:25], -1, v18
	v_cmp_gt_i32_e64 s[26:27], s42, v18
	v_mul_lo_u32 v18, v18, s46
	v_add_u32_e32 v17, v17, v11
	v_add_u32_e32 v14, v14, v11
	v_sub_u32_e32 v16, v17, v16
	v_sub_u32_e32 v13, v14, v13
	v_add_u32_e32 v3, v3, v11
	s_and_b64 s[62:63], s[18:19], s[20:21]
	s_and_b64 s[64:65], s[24:25], s[26:27]
	v_sub_u32_e32 v12, v12, v18
	v_mul_lo_u32 v17, s42, v16
	v_mul_lo_u32 v18, s42, v13
	v_sub_u32_e32 v2, v3, v2
	s_and_b64 s[54:55], s[12:13], s[60:61]
	s_and_b64 s[56:57], s[12:13], s[62:63]
	;; [unrolled: 1-line block ×3, first 2 shown]
	v_cmp_gt_i32_e64 s[12:13], s43, v5
	v_mul_lo_u32 v2, s42, v2
	s_and_b64 s[60:61], s[12:13], s[60:61]
	s_and_b64 s[62:63], s[12:13], s[62:63]
	;; [unrolled: 1-line block ×7, first 2 shown]
	v_cmp_eq_u32_e64 s[12:13], 0, v12
	v_add_u32_e32 v12, v19, v17
	v_add_u32_e32 v13, v19, v18
	;; [unrolled: 1-line block ×3, first 2 shown]
	v_sub_u32_e32 v11, v12, v15
	v_sub_u32_e32 v12, v13, v15
	v_add_u32_e32 v13, v19, v2
	v_add_u32_e32 v16, v27, v18
	v_sub_u32_e32 v14, v3, v25
	v_add_u32_e32 v3, v27, v2
	v_mul_lo_u32 v4, s88, v4
	v_sub_u32_e32 v13, v13, v15
	v_sub_u32_e32 v15, v16, v25
	;; [unrolled: 1-line block ×3, first 2 shown]
	v_add_u32_e32 v3, v21, v17
	s_and_b64 s[14:15], s[26:27], s[22:23]
	v_add_u32_e32 v18, v21, v18
	v_add_u32_e32 v19, v21, v2
	v_sub_u32_e32 v17, v3, v20
	v_mov_b32_e32 v2, 0
	s_and_b64 s[24:25], s[14:15], s[24:25]
	v_sub_u32_e32 v18, v18, v20
	v_mov_b32_e32 v3, 0
	v_sub_u32_e32 v19, v19, v20
	s_and_b64 s[26:27], s[12:13], s[10:11]
	v_cmp_eq_u32_e64 s[12:13], 0, v23
	v_cmp_eq_u32_e64 s[14:15], 0, v24
	v_cmp_lt_i32_e64 s[16:17], -1, v5
	v_cmp_eq_u32_e64 s[18:19], 0, v22
	v_cmp_eq_u32_e64 s[20:21], 0, v28
	s_branch .LBB21_9
.LBB21_6:                               ;   in Loop: Header=BB21_9 Depth=2
	s_or_b64 exec, exec, s[74:75]
.LBB21_7:                               ;   in Loop: Header=BB21_9 Depth=2
	s_or_b64 exec, exec, s[72:73]
.LBB21_8:                               ;   in Loop: Header=BB21_9 Depth=2
	s_or_b64 exec, exec, s[70:71]
	s_add_i32 s91, s91, -1
	s_add_i32 s90, s90, s89
	s_cmp_eq_u32 s91, 0
	v_add_u32_e32 v4, s87, v4
	s_cbranch_scc1 .LBB21_3
.LBB21_9:                               ;   Parent Loop BB21_4 Depth=1
                                        ; =>  This Inner Loop Header: Depth=2
	s_and_saveexec_b64 s[70:71], vcc
	s_cbranch_execnz .LBB21_18
; %bb.10:                               ;   in Loop: Header=BB21_9 Depth=2
	s_or_b64 exec, exec, s[70:71]
	s_and_saveexec_b64 s[70:71], vcc
	s_cbranch_execnz .LBB21_25
.LBB21_11:                              ;   in Loop: Header=BB21_9 Depth=2
	s_or_b64 exec, exec, s[70:71]
	s_and_saveexec_b64 s[70:71], vcc
	s_cbranch_execnz .LBB21_32
.LBB21_12:                              ;   in Loop: Header=BB21_9 Depth=2
	s_or_b64 exec, exec, s[70:71]
	s_and_saveexec_b64 s[70:71], s[2:3]
	s_cbranch_execnz .LBB21_39
.LBB21_13:                              ;   in Loop: Header=BB21_9 Depth=2
	s_or_b64 exec, exec, s[70:71]
	s_and_saveexec_b64 s[70:71], s[2:3]
	s_cbranch_execnz .LBB21_46
.LBB21_14:                              ;   in Loop: Header=BB21_9 Depth=2
	s_or_b64 exec, exec, s[70:71]
	s_and_saveexec_b64 s[70:71], s[2:3]
	s_cbranch_execnz .LBB21_53
.LBB21_15:                              ;   in Loop: Header=BB21_9 Depth=2
	s_or_b64 exec, exec, s[70:71]
	s_and_saveexec_b64 s[70:71], s[4:5]
	s_cbranch_execnz .LBB21_60
.LBB21_16:                              ;   in Loop: Header=BB21_9 Depth=2
	s_or_b64 exec, exec, s[70:71]
	s_and_saveexec_b64 s[70:71], s[4:5]
	s_cbranch_execnz .LBB21_67
.LBB21_17:                              ;   in Loop: Header=BB21_9 Depth=2
	s_or_b64 exec, exec, s[70:71]
	s_and_saveexec_b64 s[70:71], s[4:5]
	s_cbranch_execz .LBB21_8
	s_branch .LBB21_74
.LBB21_18:                              ;   in Loop: Header=BB21_9 Depth=2
	s_and_saveexec_b64 s[72:73], s[6:7]
	s_cbranch_execz .LBB21_24
; %bb.19:                               ;   in Loop: Header=BB21_9 Depth=2
	s_and_saveexec_b64 s[74:75], s[8:9]
	s_cbranch_execz .LBB21_23
; %bb.20:                               ;   in Loop: Header=BB21_9 Depth=2
	;; [unrolled: 3-line block ×3, first 2 shown]
	v_ashrrev_i32_e32 v5, 31, v4
	v_lshlrev_b64 v[21:22], 3, v[4:5]
	s_waitcnt lgkmcnt(0)
	v_mov_b32_e32 v5, s53
	v_add_co_u32_e64 v21, s[22:23], s52, v21
	v_add_u32_e32 v20, s90, v19
	v_addc_co_u32_e64 v22, s[22:23], v5, v22, s[22:23]
	global_load_dwordx2 v[22:23], v[21:22], off
	v_ashrrev_i32_e32 v21, 31, v20
	v_lshlrev_b64 v[20:21], 3, v[20:21]
	v_mov_b32_e32 v5, s31
	v_add_co_u32_e64 v20, s[22:23], s30, v20
	v_addc_co_u32_e64 v21, s[22:23], v5, v21, s[22:23]
	global_load_dwordx2 v[20:21], v[20:21], off
	s_waitcnt vmcnt(0)
	v_fma_f64 v[2:3], v[22:23], v[20:21], v[2:3]
.LBB21_22:                              ;   in Loop: Header=BB21_9 Depth=2
	s_or_b64 exec, exec, s[76:77]
.LBB21_23:                              ;   in Loop: Header=BB21_9 Depth=2
	s_or_b64 exec, exec, s[74:75]
.LBB21_24:                              ;   in Loop: Header=BB21_9 Depth=2
	s_or_b64 exec, exec, s[72:73]
	s_or_b64 exec, exec, s[70:71]
	s_and_saveexec_b64 s[70:71], vcc
	s_cbranch_execz .LBB21_11
.LBB21_25:                              ;   in Loop: Header=BB21_9 Depth=2
	s_and_saveexec_b64 s[72:73], s[12:13]
	s_cbranch_execz .LBB21_31
; %bb.26:                               ;   in Loop: Header=BB21_9 Depth=2
	s_and_saveexec_b64 s[74:75], s[8:9]
	s_cbranch_execz .LBB21_30
; %bb.27:                               ;   in Loop: Header=BB21_9 Depth=2
	;; [unrolled: 3-line block ×3, first 2 shown]
	v_ashrrev_i32_e32 v5, 31, v4
	v_lshlrev_b64 v[21:22], 3, v[4:5]
	s_waitcnt lgkmcnt(0)
	v_mov_b32_e32 v5, s53
	v_add_co_u32_e64 v21, s[22:23], s52, v21
	v_add_u32_e32 v20, s90, v16
	v_addc_co_u32_e64 v22, s[22:23], v5, v22, s[22:23]
	global_load_dwordx2 v[22:23], v[21:22], off offset:8
	v_ashrrev_i32_e32 v21, 31, v20
	v_lshlrev_b64 v[20:21], 3, v[20:21]
	v_mov_b32_e32 v5, s31
	v_add_co_u32_e64 v20, s[22:23], s30, v20
	v_addc_co_u32_e64 v21, s[22:23], v5, v21, s[22:23]
	global_load_dwordx2 v[20:21], v[20:21], off
	s_waitcnt vmcnt(0)
	v_fma_f64 v[2:3], v[22:23], v[20:21], v[2:3]
.LBB21_29:                              ;   in Loop: Header=BB21_9 Depth=2
	s_or_b64 exec, exec, s[76:77]
.LBB21_30:                              ;   in Loop: Header=BB21_9 Depth=2
	s_or_b64 exec, exec, s[74:75]
.LBB21_31:                              ;   in Loop: Header=BB21_9 Depth=2
	s_or_b64 exec, exec, s[72:73]
	s_or_b64 exec, exec, s[70:71]
	s_and_saveexec_b64 s[70:71], vcc
	s_cbranch_execz .LBB21_12
.LBB21_32:                              ;   in Loop: Header=BB21_9 Depth=2
	s_and_saveexec_b64 s[72:73], s[14:15]
	s_cbranch_execz .LBB21_38
; %bb.33:                               ;   in Loop: Header=BB21_9 Depth=2
	s_and_saveexec_b64 s[74:75], s[8:9]
	s_cbranch_execz .LBB21_37
; %bb.34:                               ;   in Loop: Header=BB21_9 Depth=2
	;; [unrolled: 3-line block ×3, first 2 shown]
	v_ashrrev_i32_e32 v5, 31, v4
	v_lshlrev_b64 v[21:22], 3, v[4:5]
	s_waitcnt lgkmcnt(0)
	v_mov_b32_e32 v5, s53
	v_add_co_u32_e64 v21, s[22:23], s52, v21
	v_add_u32_e32 v20, s90, v13
	v_addc_co_u32_e64 v22, s[22:23], v5, v22, s[22:23]
	global_load_dwordx2 v[22:23], v[21:22], off offset:16
	v_ashrrev_i32_e32 v21, 31, v20
	v_lshlrev_b64 v[20:21], 3, v[20:21]
	v_mov_b32_e32 v5, s31
	v_add_co_u32_e64 v20, s[22:23], s30, v20
	v_addc_co_u32_e64 v21, s[22:23], v5, v21, s[22:23]
	global_load_dwordx2 v[20:21], v[20:21], off
	s_waitcnt vmcnt(0)
	v_fma_f64 v[2:3], v[22:23], v[20:21], v[2:3]
.LBB21_36:                              ;   in Loop: Header=BB21_9 Depth=2
	s_or_b64 exec, exec, s[76:77]
.LBB21_37:                              ;   in Loop: Header=BB21_9 Depth=2
	s_or_b64 exec, exec, s[74:75]
.LBB21_38:                              ;   in Loop: Header=BB21_9 Depth=2
	s_or_b64 exec, exec, s[72:73]
	s_or_b64 exec, exec, s[70:71]
	s_and_saveexec_b64 s[70:71], s[2:3]
	s_cbranch_execz .LBB21_13
.LBB21_39:                              ;   in Loop: Header=BB21_9 Depth=2
	s_and_saveexec_b64 s[72:73], s[6:7]
	s_cbranch_execz .LBB21_45
; %bb.40:                               ;   in Loop: Header=BB21_9 Depth=2
	s_and_saveexec_b64 s[74:75], s[16:17]
	s_cbranch_execz .LBB21_44
; %bb.41:                               ;   in Loop: Header=BB21_9 Depth=2
	;; [unrolled: 3-line block ×3, first 2 shown]
	v_ashrrev_i32_e32 v5, 31, v4
	v_lshlrev_b64 v[21:22], 3, v[4:5]
	s_waitcnt lgkmcnt(0)
	v_mov_b32_e32 v5, s53
	v_add_co_u32_e64 v21, s[22:23], s52, v21
	v_add_u32_e32 v20, s90, v18
	v_addc_co_u32_e64 v22, s[22:23], v5, v22, s[22:23]
	global_load_dwordx2 v[22:23], v[21:22], off offset:24
	v_ashrrev_i32_e32 v21, 31, v20
	v_lshlrev_b64 v[20:21], 3, v[20:21]
	v_mov_b32_e32 v5, s31
	v_add_co_u32_e64 v20, s[22:23], s30, v20
	v_addc_co_u32_e64 v21, s[22:23], v5, v21, s[22:23]
	global_load_dwordx2 v[20:21], v[20:21], off
	s_waitcnt vmcnt(0)
	v_fma_f64 v[2:3], v[22:23], v[20:21], v[2:3]
.LBB21_43:                              ;   in Loop: Header=BB21_9 Depth=2
	s_or_b64 exec, exec, s[76:77]
.LBB21_44:                              ;   in Loop: Header=BB21_9 Depth=2
	s_or_b64 exec, exec, s[74:75]
.LBB21_45:                              ;   in Loop: Header=BB21_9 Depth=2
	s_or_b64 exec, exec, s[72:73]
	s_or_b64 exec, exec, s[70:71]
	s_and_saveexec_b64 s[70:71], s[2:3]
	s_cbranch_execz .LBB21_14
.LBB21_46:                              ;   in Loop: Header=BB21_9 Depth=2
	s_and_saveexec_b64 s[72:73], s[12:13]
	s_cbranch_execz .LBB21_52
; %bb.47:                               ;   in Loop: Header=BB21_9 Depth=2
	s_and_saveexec_b64 s[74:75], s[16:17]
	s_cbranch_execz .LBB21_51
; %bb.48:                               ;   in Loop: Header=BB21_9 Depth=2
	s_and_saveexec_b64 s[76:77], s[62:63]
	s_cbranch_execz .LBB21_50
; %bb.49:                               ;   in Loop: Header=BB21_9 Depth=2
	v_ashrrev_i32_e32 v5, 31, v4
	v_lshlrev_b64 v[21:22], 3, v[4:5]
	s_waitcnt lgkmcnt(0)
	v_mov_b32_e32 v5, s53
	v_add_co_u32_e64 v21, s[22:23], s52, v21
	v_add_u32_e32 v20, s90, v15
	v_addc_co_u32_e64 v22, s[22:23], v5, v22, s[22:23]
	global_load_dwordx2 v[22:23], v[21:22], off offset:32
	v_ashrrev_i32_e32 v21, 31, v20
	v_lshlrev_b64 v[20:21], 3, v[20:21]
	v_mov_b32_e32 v5, s31
	v_add_co_u32_e64 v20, s[22:23], s30, v20
	v_addc_co_u32_e64 v21, s[22:23], v5, v21, s[22:23]
	global_load_dwordx2 v[20:21], v[20:21], off
	s_waitcnt vmcnt(0)
	v_fma_f64 v[2:3], v[22:23], v[20:21], v[2:3]
.LBB21_50:                              ;   in Loop: Header=BB21_9 Depth=2
	s_or_b64 exec, exec, s[76:77]
.LBB21_51:                              ;   in Loop: Header=BB21_9 Depth=2
	s_or_b64 exec, exec, s[74:75]
.LBB21_52:                              ;   in Loop: Header=BB21_9 Depth=2
	s_or_b64 exec, exec, s[72:73]
	s_or_b64 exec, exec, s[70:71]
	s_and_saveexec_b64 s[70:71], s[2:3]
	s_cbranch_execz .LBB21_15
.LBB21_53:                              ;   in Loop: Header=BB21_9 Depth=2
	s_and_saveexec_b64 s[72:73], s[14:15]
	s_cbranch_execz .LBB21_59
; %bb.54:                               ;   in Loop: Header=BB21_9 Depth=2
	s_and_saveexec_b64 s[74:75], s[16:17]
	s_cbranch_execz .LBB21_58
; %bb.55:                               ;   in Loop: Header=BB21_9 Depth=2
	;; [unrolled: 3-line block ×3, first 2 shown]
	v_ashrrev_i32_e32 v5, 31, v4
	v_lshlrev_b64 v[21:22], 3, v[4:5]
	s_waitcnt lgkmcnt(0)
	v_mov_b32_e32 v5, s53
	v_add_co_u32_e64 v21, s[22:23], s52, v21
	v_add_u32_e32 v20, s90, v12
	v_addc_co_u32_e64 v22, s[22:23], v5, v22, s[22:23]
	global_load_dwordx2 v[22:23], v[21:22], off offset:40
	v_ashrrev_i32_e32 v21, 31, v20
	v_lshlrev_b64 v[20:21], 3, v[20:21]
	v_mov_b32_e32 v5, s31
	v_add_co_u32_e64 v20, s[22:23], s30, v20
	v_addc_co_u32_e64 v21, s[22:23], v5, v21, s[22:23]
	global_load_dwordx2 v[20:21], v[20:21], off
	s_waitcnt vmcnt(0)
	v_fma_f64 v[2:3], v[22:23], v[20:21], v[2:3]
.LBB21_57:                              ;   in Loop: Header=BB21_9 Depth=2
	s_or_b64 exec, exec, s[76:77]
.LBB21_58:                              ;   in Loop: Header=BB21_9 Depth=2
	s_or_b64 exec, exec, s[74:75]
.LBB21_59:                              ;   in Loop: Header=BB21_9 Depth=2
	s_or_b64 exec, exec, s[72:73]
	s_or_b64 exec, exec, s[70:71]
	s_and_saveexec_b64 s[70:71], s[4:5]
	s_cbranch_execz .LBB21_16
.LBB21_60:                              ;   in Loop: Header=BB21_9 Depth=2
	s_and_saveexec_b64 s[72:73], s[18:19]
	s_cbranch_execz .LBB21_66
; %bb.61:                               ;   in Loop: Header=BB21_9 Depth=2
	s_and_saveexec_b64 s[74:75], s[10:11]
	s_cbranch_execz .LBB21_65
; %bb.62:                               ;   in Loop: Header=BB21_9 Depth=2
	;; [unrolled: 3-line block ×3, first 2 shown]
	v_ashrrev_i32_e32 v5, 31, v4
	v_lshlrev_b64 v[21:22], 3, v[4:5]
	s_waitcnt lgkmcnt(0)
	v_mov_b32_e32 v5, s53
	v_add_co_u32_e64 v21, s[22:23], s52, v21
	v_add_u32_e32 v20, s90, v17
	v_addc_co_u32_e64 v22, s[22:23], v5, v22, s[22:23]
	global_load_dwordx2 v[22:23], v[21:22], off offset:48
	v_ashrrev_i32_e32 v21, 31, v20
	v_lshlrev_b64 v[20:21], 3, v[20:21]
	v_mov_b32_e32 v5, s31
	v_add_co_u32_e64 v20, s[22:23], s30, v20
	v_addc_co_u32_e64 v21, s[22:23], v5, v21, s[22:23]
	global_load_dwordx2 v[20:21], v[20:21], off
	s_waitcnt vmcnt(0)
	v_fma_f64 v[2:3], v[22:23], v[20:21], v[2:3]
.LBB21_64:                              ;   in Loop: Header=BB21_9 Depth=2
	s_or_b64 exec, exec, s[76:77]
.LBB21_65:                              ;   in Loop: Header=BB21_9 Depth=2
	s_or_b64 exec, exec, s[74:75]
.LBB21_66:                              ;   in Loop: Header=BB21_9 Depth=2
	s_or_b64 exec, exec, s[72:73]
	s_or_b64 exec, exec, s[70:71]
	s_and_saveexec_b64 s[70:71], s[4:5]
	s_cbranch_execz .LBB21_17
.LBB21_67:                              ;   in Loop: Header=BB21_9 Depth=2
	s_and_saveexec_b64 s[72:73], s[20:21]
	s_cbranch_execz .LBB21_73
; %bb.68:                               ;   in Loop: Header=BB21_9 Depth=2
	s_and_saveexec_b64 s[74:75], s[10:11]
	s_cbranch_execz .LBB21_72
; %bb.69:                               ;   in Loop: Header=BB21_9 Depth=2
	;; [unrolled: 3-line block ×3, first 2 shown]
	v_ashrrev_i32_e32 v5, 31, v4
	v_lshlrev_b64 v[21:22], 3, v[4:5]
	s_waitcnt lgkmcnt(0)
	v_mov_b32_e32 v5, s53
	v_add_co_u32_e64 v21, s[22:23], s52, v21
	v_add_u32_e32 v20, s90, v14
	v_addc_co_u32_e64 v22, s[22:23], v5, v22, s[22:23]
	global_load_dwordx2 v[22:23], v[21:22], off offset:56
	v_ashrrev_i32_e32 v21, 31, v20
	v_lshlrev_b64 v[20:21], 3, v[20:21]
	v_mov_b32_e32 v5, s31
	v_add_co_u32_e64 v20, s[22:23], s30, v20
	v_addc_co_u32_e64 v21, s[22:23], v5, v21, s[22:23]
	global_load_dwordx2 v[20:21], v[20:21], off
	s_waitcnt vmcnt(0)
	v_fma_f64 v[2:3], v[22:23], v[20:21], v[2:3]
.LBB21_71:                              ;   in Loop: Header=BB21_9 Depth=2
	s_or_b64 exec, exec, s[76:77]
.LBB21_72:                              ;   in Loop: Header=BB21_9 Depth=2
	s_or_b64 exec, exec, s[74:75]
.LBB21_73:                              ;   in Loop: Header=BB21_9 Depth=2
	s_or_b64 exec, exec, s[72:73]
	s_or_b64 exec, exec, s[70:71]
	s_and_saveexec_b64 s[70:71], s[4:5]
	s_cbranch_execz .LBB21_8
.LBB21_74:                              ;   in Loop: Header=BB21_9 Depth=2
	s_and_saveexec_b64 s[72:73], s[26:27]
	s_cbranch_execz .LBB21_7
; %bb.75:                               ;   in Loop: Header=BB21_9 Depth=2
	s_and_saveexec_b64 s[74:75], s[24:25]
	s_cbranch_execz .LBB21_6
; %bb.76:                               ;   in Loop: Header=BB21_9 Depth=2
	v_ashrrev_i32_e32 v5, 31, v4
	v_lshlrev_b64 v[21:22], 3, v[4:5]
	s_waitcnt lgkmcnt(0)
	v_mov_b32_e32 v5, s53
	v_add_co_u32_e64 v21, s[22:23], s52, v21
	v_add_u32_e32 v20, s90, v11
	v_addc_co_u32_e64 v22, s[22:23], v5, v22, s[22:23]
	global_load_dwordx2 v[22:23], v[21:22], off offset:64
	v_ashrrev_i32_e32 v21, 31, v20
	v_lshlrev_b64 v[20:21], 3, v[20:21]
	v_mov_b32_e32 v5, s31
	v_add_co_u32_e64 v20, s[22:23], s30, v20
	v_addc_co_u32_e64 v21, s[22:23], v5, v21, s[22:23]
	global_load_dwordx2 v[20:21], v[20:21], off
	s_waitcnt vmcnt(0)
	v_fma_f64 v[2:3], v[22:23], v[20:21], v[2:3]
	s_branch .LBB21_6
.LBB21_77:
	s_endpgm
	.section	.rodata,"a",@progbits
	.p2align	6, 0x0
	.amdhsa_kernel _ZN2at6native12_GLOBAL__N_132conv_depthwise2d_backward_kernelILi3ELi0EdiEEvN5torch10headeronly6detail27GenericPackedTensorAccessorINS5_14TensorAccessorIN3c108ArrayRefIlEEKT1_Lm3ENS4_16DefaultPtrTraitsEiEENS_6detail16IndexBoundsCheckILm4EiEESC_Lm4ESD_iEENS6_INS7_ISA_SB_Lm3ESD_iEESH_SB_Lm4ESD_iEESI_T2_iiiiiiiiiiiiiii
		.amdhsa_group_segment_fixed_size 0
		.amdhsa_private_segment_fixed_size 0
		.amdhsa_kernarg_size 440
		.amdhsa_user_sgpr_count 6
		.amdhsa_user_sgpr_private_segment_buffer 1
		.amdhsa_user_sgpr_dispatch_ptr 0
		.amdhsa_user_sgpr_queue_ptr 0
		.amdhsa_user_sgpr_kernarg_segment_ptr 1
		.amdhsa_user_sgpr_dispatch_id 0
		.amdhsa_user_sgpr_flat_scratch_init 0
		.amdhsa_user_sgpr_private_segment_size 0
		.amdhsa_uses_dynamic_stack 0
		.amdhsa_system_sgpr_private_segment_wavefront_offset 0
		.amdhsa_system_sgpr_workgroup_id_x 1
		.amdhsa_system_sgpr_workgroup_id_y 0
		.amdhsa_system_sgpr_workgroup_id_z 0
		.amdhsa_system_sgpr_workgroup_info 0
		.amdhsa_system_vgpr_workitem_id 0
		.amdhsa_next_free_vgpr 29
		.amdhsa_next_free_sgpr 92
		.amdhsa_reserve_vcc 1
		.amdhsa_reserve_flat_scratch 0
		.amdhsa_float_round_mode_32 0
		.amdhsa_float_round_mode_16_64 0
		.amdhsa_float_denorm_mode_32 3
		.amdhsa_float_denorm_mode_16_64 3
		.amdhsa_dx10_clamp 1
		.amdhsa_ieee_mode 1
		.amdhsa_fp16_overflow 0
		.amdhsa_exception_fp_ieee_invalid_op 0
		.amdhsa_exception_fp_denorm_src 0
		.amdhsa_exception_fp_ieee_div_zero 0
		.amdhsa_exception_fp_ieee_overflow 0
		.amdhsa_exception_fp_ieee_underflow 0
		.amdhsa_exception_fp_ieee_inexact 0
		.amdhsa_exception_int_div_zero 0
	.end_amdhsa_kernel
	.section	.text._ZN2at6native12_GLOBAL__N_132conv_depthwise2d_backward_kernelILi3ELi0EdiEEvN5torch10headeronly6detail27GenericPackedTensorAccessorINS5_14TensorAccessorIN3c108ArrayRefIlEEKT1_Lm3ENS4_16DefaultPtrTraitsEiEENS_6detail16IndexBoundsCheckILm4EiEESC_Lm4ESD_iEENS6_INS7_ISA_SB_Lm3ESD_iEESH_SB_Lm4ESD_iEESI_T2_iiiiiiiiiiiiiii,"axG",@progbits,_ZN2at6native12_GLOBAL__N_132conv_depthwise2d_backward_kernelILi3ELi0EdiEEvN5torch10headeronly6detail27GenericPackedTensorAccessorINS5_14TensorAccessorIN3c108ArrayRefIlEEKT1_Lm3ENS4_16DefaultPtrTraitsEiEENS_6detail16IndexBoundsCheckILm4EiEESC_Lm4ESD_iEENS6_INS7_ISA_SB_Lm3ESD_iEESH_SB_Lm4ESD_iEESI_T2_iiiiiiiiiiiiiii,comdat
.Lfunc_end21:
	.size	_ZN2at6native12_GLOBAL__N_132conv_depthwise2d_backward_kernelILi3ELi0EdiEEvN5torch10headeronly6detail27GenericPackedTensorAccessorINS5_14TensorAccessorIN3c108ArrayRefIlEEKT1_Lm3ENS4_16DefaultPtrTraitsEiEENS_6detail16IndexBoundsCheckILm4EiEESC_Lm4ESD_iEENS6_INS7_ISA_SB_Lm3ESD_iEESH_SB_Lm4ESD_iEESI_T2_iiiiiiiiiiiiiii, .Lfunc_end21-_ZN2at6native12_GLOBAL__N_132conv_depthwise2d_backward_kernelILi3ELi0EdiEEvN5torch10headeronly6detail27GenericPackedTensorAccessorINS5_14TensorAccessorIN3c108ArrayRefIlEEKT1_Lm3ENS4_16DefaultPtrTraitsEiEENS_6detail16IndexBoundsCheckILm4EiEESC_Lm4ESD_iEENS6_INS7_ISA_SB_Lm3ESD_iEESH_SB_Lm4ESD_iEESI_T2_iiiiiiiiiiiiiii
                                        ; -- End function
	.set _ZN2at6native12_GLOBAL__N_132conv_depthwise2d_backward_kernelILi3ELi0EdiEEvN5torch10headeronly6detail27GenericPackedTensorAccessorINS5_14TensorAccessorIN3c108ArrayRefIlEEKT1_Lm3ENS4_16DefaultPtrTraitsEiEENS_6detail16IndexBoundsCheckILm4EiEESC_Lm4ESD_iEENS6_INS7_ISA_SB_Lm3ESD_iEESH_SB_Lm4ESD_iEESI_T2_iiiiiiiiiiiiiii.num_vgpr, 29
	.set _ZN2at6native12_GLOBAL__N_132conv_depthwise2d_backward_kernelILi3ELi0EdiEEvN5torch10headeronly6detail27GenericPackedTensorAccessorINS5_14TensorAccessorIN3c108ArrayRefIlEEKT1_Lm3ENS4_16DefaultPtrTraitsEiEENS_6detail16IndexBoundsCheckILm4EiEESC_Lm4ESD_iEENS6_INS7_ISA_SB_Lm3ESD_iEESH_SB_Lm4ESD_iEESI_T2_iiiiiiiiiiiiiii.num_agpr, 0
	.set _ZN2at6native12_GLOBAL__N_132conv_depthwise2d_backward_kernelILi3ELi0EdiEEvN5torch10headeronly6detail27GenericPackedTensorAccessorINS5_14TensorAccessorIN3c108ArrayRefIlEEKT1_Lm3ENS4_16DefaultPtrTraitsEiEENS_6detail16IndexBoundsCheckILm4EiEESC_Lm4ESD_iEENS6_INS7_ISA_SB_Lm3ESD_iEESH_SB_Lm4ESD_iEESI_T2_iiiiiiiiiiiiiii.numbered_sgpr, 92
	.set _ZN2at6native12_GLOBAL__N_132conv_depthwise2d_backward_kernelILi3ELi0EdiEEvN5torch10headeronly6detail27GenericPackedTensorAccessorINS5_14TensorAccessorIN3c108ArrayRefIlEEKT1_Lm3ENS4_16DefaultPtrTraitsEiEENS_6detail16IndexBoundsCheckILm4EiEESC_Lm4ESD_iEENS6_INS7_ISA_SB_Lm3ESD_iEESH_SB_Lm4ESD_iEESI_T2_iiiiiiiiiiiiiii.num_named_barrier, 0
	.set _ZN2at6native12_GLOBAL__N_132conv_depthwise2d_backward_kernelILi3ELi0EdiEEvN5torch10headeronly6detail27GenericPackedTensorAccessorINS5_14TensorAccessorIN3c108ArrayRefIlEEKT1_Lm3ENS4_16DefaultPtrTraitsEiEENS_6detail16IndexBoundsCheckILm4EiEESC_Lm4ESD_iEENS6_INS7_ISA_SB_Lm3ESD_iEESH_SB_Lm4ESD_iEESI_T2_iiiiiiiiiiiiiii.private_seg_size, 0
	.set _ZN2at6native12_GLOBAL__N_132conv_depthwise2d_backward_kernelILi3ELi0EdiEEvN5torch10headeronly6detail27GenericPackedTensorAccessorINS5_14TensorAccessorIN3c108ArrayRefIlEEKT1_Lm3ENS4_16DefaultPtrTraitsEiEENS_6detail16IndexBoundsCheckILm4EiEESC_Lm4ESD_iEENS6_INS7_ISA_SB_Lm3ESD_iEESH_SB_Lm4ESD_iEESI_T2_iiiiiiiiiiiiiii.uses_vcc, 1
	.set _ZN2at6native12_GLOBAL__N_132conv_depthwise2d_backward_kernelILi3ELi0EdiEEvN5torch10headeronly6detail27GenericPackedTensorAccessorINS5_14TensorAccessorIN3c108ArrayRefIlEEKT1_Lm3ENS4_16DefaultPtrTraitsEiEENS_6detail16IndexBoundsCheckILm4EiEESC_Lm4ESD_iEENS6_INS7_ISA_SB_Lm3ESD_iEESH_SB_Lm4ESD_iEESI_T2_iiiiiiiiiiiiiii.uses_flat_scratch, 0
	.set _ZN2at6native12_GLOBAL__N_132conv_depthwise2d_backward_kernelILi3ELi0EdiEEvN5torch10headeronly6detail27GenericPackedTensorAccessorINS5_14TensorAccessorIN3c108ArrayRefIlEEKT1_Lm3ENS4_16DefaultPtrTraitsEiEENS_6detail16IndexBoundsCheckILm4EiEESC_Lm4ESD_iEENS6_INS7_ISA_SB_Lm3ESD_iEESH_SB_Lm4ESD_iEESI_T2_iiiiiiiiiiiiiii.has_dyn_sized_stack, 0
	.set _ZN2at6native12_GLOBAL__N_132conv_depthwise2d_backward_kernelILi3ELi0EdiEEvN5torch10headeronly6detail27GenericPackedTensorAccessorINS5_14TensorAccessorIN3c108ArrayRefIlEEKT1_Lm3ENS4_16DefaultPtrTraitsEiEENS_6detail16IndexBoundsCheckILm4EiEESC_Lm4ESD_iEENS6_INS7_ISA_SB_Lm3ESD_iEESH_SB_Lm4ESD_iEESI_T2_iiiiiiiiiiiiiii.has_recursion, 0
	.set _ZN2at6native12_GLOBAL__N_132conv_depthwise2d_backward_kernelILi3ELi0EdiEEvN5torch10headeronly6detail27GenericPackedTensorAccessorINS5_14TensorAccessorIN3c108ArrayRefIlEEKT1_Lm3ENS4_16DefaultPtrTraitsEiEENS_6detail16IndexBoundsCheckILm4EiEESC_Lm4ESD_iEENS6_INS7_ISA_SB_Lm3ESD_iEESH_SB_Lm4ESD_iEESI_T2_iiiiiiiiiiiiiii.has_indirect_call, 0
	.section	.AMDGPU.csdata,"",@progbits
; Kernel info:
; codeLenInByte = 3340
; TotalNumSgprs: 96
; NumVgprs: 29
; ScratchSize: 0
; MemoryBound: 0
; FloatMode: 240
; IeeeMode: 1
; LDSByteSize: 0 bytes/workgroup (compile time only)
; SGPRBlocks: 11
; VGPRBlocks: 7
; NumSGPRsForWavesPerEU: 96
; NumVGPRsForWavesPerEU: 29
; Occupancy: 8
; WaveLimiterHint : 0
; COMPUTE_PGM_RSRC2:SCRATCH_EN: 0
; COMPUTE_PGM_RSRC2:USER_SGPR: 6
; COMPUTE_PGM_RSRC2:TRAP_HANDLER: 0
; COMPUTE_PGM_RSRC2:TGID_X_EN: 1
; COMPUTE_PGM_RSRC2:TGID_Y_EN: 0
; COMPUTE_PGM_RSRC2:TGID_Z_EN: 0
; COMPUTE_PGM_RSRC2:TIDIG_COMP_CNT: 0
	.section	.text._ZN2at6native12_GLOBAL__N_132conv_depthwise2d_backward_kernelILi1ELi1EdiEEvN5torch10headeronly6detail27GenericPackedTensorAccessorINS5_14TensorAccessorIN3c108ArrayRefIlEEKT1_Lm3ENS4_16DefaultPtrTraitsEiEENS_6detail16IndexBoundsCheckILm4EiEESC_Lm4ESD_iEENS6_INS7_ISA_SB_Lm3ESD_iEESH_SB_Lm4ESD_iEESI_T2_iiiiiiiiiiiiiii,"axG",@progbits,_ZN2at6native12_GLOBAL__N_132conv_depthwise2d_backward_kernelILi1ELi1EdiEEvN5torch10headeronly6detail27GenericPackedTensorAccessorINS5_14TensorAccessorIN3c108ArrayRefIlEEKT1_Lm3ENS4_16DefaultPtrTraitsEiEENS_6detail16IndexBoundsCheckILm4EiEESC_Lm4ESD_iEENS6_INS7_ISA_SB_Lm3ESD_iEESH_SB_Lm4ESD_iEESI_T2_iiiiiiiiiiiiiii,comdat
	.globl	_ZN2at6native12_GLOBAL__N_132conv_depthwise2d_backward_kernelILi1ELi1EdiEEvN5torch10headeronly6detail27GenericPackedTensorAccessorINS5_14TensorAccessorIN3c108ArrayRefIlEEKT1_Lm3ENS4_16DefaultPtrTraitsEiEENS_6detail16IndexBoundsCheckILm4EiEESC_Lm4ESD_iEENS6_INS7_ISA_SB_Lm3ESD_iEESH_SB_Lm4ESD_iEESI_T2_iiiiiiiiiiiiiii ; -- Begin function _ZN2at6native12_GLOBAL__N_132conv_depthwise2d_backward_kernelILi1ELi1EdiEEvN5torch10headeronly6detail27GenericPackedTensorAccessorINS5_14TensorAccessorIN3c108ArrayRefIlEEKT1_Lm3ENS4_16DefaultPtrTraitsEiEENS_6detail16IndexBoundsCheckILm4EiEESC_Lm4ESD_iEENS6_INS7_ISA_SB_Lm3ESD_iEESH_SB_Lm4ESD_iEESI_T2_iiiiiiiiiiiiiii
	.p2align	8
	.type	_ZN2at6native12_GLOBAL__N_132conv_depthwise2d_backward_kernelILi1ELi1EdiEEvN5torch10headeronly6detail27GenericPackedTensorAccessorINS5_14TensorAccessorIN3c108ArrayRefIlEEKT1_Lm3ENS4_16DefaultPtrTraitsEiEENS_6detail16IndexBoundsCheckILm4EiEESC_Lm4ESD_iEENS6_INS7_ISA_SB_Lm3ESD_iEESH_SB_Lm4ESD_iEESI_T2_iiiiiiiiiiiiiii,@function
_ZN2at6native12_GLOBAL__N_132conv_depthwise2d_backward_kernelILi1ELi1EdiEEvN5torch10headeronly6detail27GenericPackedTensorAccessorINS5_14TensorAccessorIN3c108ArrayRefIlEEKT1_Lm3ENS4_16DefaultPtrTraitsEiEENS_6detail16IndexBoundsCheckILm4EiEESC_Lm4ESD_iEENS6_INS7_ISA_SB_Lm3ESD_iEESH_SB_Lm4ESD_iEESI_T2_iiiiiiiiiiiiiii: ; @_ZN2at6native12_GLOBAL__N_132conv_depthwise2d_backward_kernelILi1ELi1EdiEEvN5torch10headeronly6detail27GenericPackedTensorAccessorINS5_14TensorAccessorIN3c108ArrayRefIlEEKT1_Lm3ENS4_16DefaultPtrTraitsEiEENS_6detail16IndexBoundsCheckILm4EiEESC_Lm4ESD_iEENS6_INS7_ISA_SB_Lm3ESD_iEESH_SB_Lm4ESD_iEESI_T2_iiiiiiiiiiiiiii
; %bb.0:
	s_load_dword s2, s[4:5], 0xc4
	s_load_dwordx8 s[8:15], s[4:5], 0x78
	s_add_u32 s0, s4, 0xb8
	s_addc_u32 s1, s5, 0
	v_mov_b32_e32 v1, 0
	s_waitcnt lgkmcnt(0)
	s_and_b32 s2, s2, 0xffff
	v_mov_b32_e32 v2, s6
	v_mad_u64_u32 v[1:2], s[16:17], s2, v2, v[0:1]
	s_ashr_i32 s17, s8, 31
	s_mov_b32 s16, s8
	v_cmp_gt_i64_e32 vcc, s[16:17], v[1:2]
	s_and_saveexec_b64 s[18:19], vcc
	s_cbranch_execz .LBB22_9
; %bb.1:
	s_cmp_gt_i32 s10, 0
	s_cselect_b64 s[38:39], -1, 0
	s_abs_i32 s8, s12
	v_cvt_f32_u32_e32 v3, s8
	s_abs_i32 s28, s13
	v_cvt_f32_u32_e32 v4, s28
	s_abs_i32 s29, s9
	v_rcp_iflag_f32_e32 v3, v3
	v_cvt_f32_u32_e32 v5, s29
	v_rcp_iflag_f32_e32 v4, v4
	s_load_dwordx2 s[26:27], s[4:5], 0x98
	s_load_dwordx2 s[20:21], s[4:5], 0x0
	;; [unrolled: 1-line block ×4, first 2 shown]
	s_load_dword s3, s[0:1], 0x0
	v_mul_f32_e32 v3, 0x4f7ffffe, v3
	v_rcp_iflag_f32_e32 v5, v5
	v_cvt_u32_f32_e32 v3, v3
	v_mul_f32_e32 v4, 0x4f7ffffe, v4
	s_sub_i32 s0, 0, s8
	v_cvt_u32_f32_e32 v4, v4
	v_mul_f32_e32 v5, 0x4f7ffffe, v5
	v_mul_lo_u32 v6, s0, v3
	v_cvt_u32_f32_e32 v5, v5
	s_sub_i32 s0, 0, s28
	v_mul_lo_u32 v7, s0, v4
	s_sub_i32 s0, 0, s29
	v_mul_hi_u32 v6, v3, v6
	v_mul_lo_u32 v8, s0, v5
	s_load_dwordx2 s[18:19], s[4:5], 0xa8
	v_mul_hi_u32 v7, v4, v7
	v_add_u32_e32 v9, v3, v6
	v_mul_hi_u32 v3, v5, v8
	s_mul_i32 s0, s6, s2
	s_waitcnt lgkmcnt(0)
	s_mul_i32 s35, s27, s26
	s_add_i32 s0, s0, s18
	v_add_u32_e32 v11, v5, v3
	v_cndmask_b32_e64 v3, 0, 1, s[38:39]
	s_mul_i32 s30, s3, s2
	s_ashr_i32 s31, s12, 31
	s_ashr_i32 s33, s13, 31
	v_add_u32_e32 v10, v4, v7
	s_ashr_i32 s34, s9, 31
	s_mul_i32 s36, s35, s10
	v_add_u32_e32 v0, s0, v0
	s_mul_i32 s37, s15, s14
	s_mov_b64 s[26:27], 0
	v_cmp_ne_u32_e64 s[0:1], 1, v3
	s_branch .LBB22_4
.LBB22_2:                               ;   in Loop: Header=BB22_4 Depth=1
	v_mov_b32_e32 v3, 0
	v_mov_b32_e32 v4, 0
.LBB22_3:                               ;   in Loop: Header=BB22_4 Depth=1
	v_lshlrev_b64 v[5:6], 3, v[1:2]
	v_mov_b32_e32 v7, s23
	v_add_co_u32_e32 v5, vcc, s22, v5
	v_addc_co_u32_e32 v6, vcc, v7, v6, vcc
	v_add_co_u32_e32 v1, vcc, s30, v1
	v_addc_co_u32_e32 v2, vcc, 0, v2, vcc
	v_cmp_le_i64_e32 vcc, s[16:17], v[1:2]
	v_add_u32_e32 v0, s30, v0
	s_or_b64 s[26:27], vcc, s[26:27]
	global_store_dwordx2 v[5:6], v[3:4], off
	s_andn2_b64 exec, exec, s[26:27]
	s_cbranch_execz .LBB22_9
.LBB22_4:                               ; =>This Loop Header: Depth=1
                                        ;     Child Loop BB22_7 Depth 2
	s_and_b64 vcc, exec, s[0:1]
	s_cbranch_vccnz .LBB22_2
; %bb.5:                                ;   in Loop: Header=BB22_4 Depth=1
	v_sub_u32_e32 v3, 0, v1
	v_max_i32_e32 v3, v1, v3
	v_mul_hi_u32 v4, v3, v9
	v_ashrrev_i32_e32 v6, 31, v1
	v_xor_b32_e32 v6, s31, v6
	v_mul_lo_u32 v5, v4, s8
	v_add_u32_e32 v7, 1, v4
	v_sub_u32_e32 v3, v3, v5
	v_cmp_le_u32_e32 vcc, s8, v3
	v_subrev_u32_e32 v5, s8, v3
	v_cndmask_b32_e32 v4, v4, v7, vcc
	v_cndmask_b32_e32 v3, v3, v5, vcc
	v_add_u32_e32 v5, 1, v4
	v_cmp_le_u32_e32 vcc, s8, v3
	v_cndmask_b32_e32 v3, v4, v5, vcc
	v_xor_b32_e32 v5, v3, v6
	v_sub_u32_e32 v3, v5, v6
	v_sub_u32_e32 v4, 0, v3
	v_max_i32_e32 v4, v3, v4
	v_mul_hi_u32 v7, v4, v10
	v_ashrrev_i32_e32 v12, 31, v3
	v_xor_b32_e32 v12, s33, v12
	v_mul_lo_u32 v8, v7, s28
	v_add_u32_e32 v13, 1, v7
	v_sub_u32_e32 v4, v4, v8
	v_cmp_le_u32_e32 vcc, s28, v4
	v_subrev_u32_e32 v8, s28, v4
	v_cndmask_b32_e32 v7, v7, v13, vcc
	v_cndmask_b32_e32 v4, v4, v8, vcc
	v_add_u32_e32 v8, 1, v7
	v_cmp_le_u32_e32 vcc, s28, v4
	v_cndmask_b32_e32 v4, v7, v8, vcc
	v_xor_b32_e32 v4, v4, v12
	v_sub_u32_e32 v4, v4, v12
	;; [unrolled: 17-line block ×3, first 2 shown]
	v_mul_lo_u32 v8, v7, s9
	v_mul_lo_u32 v12, v4, s13
	;; [unrolled: 1-line block ×3, first 2 shown]
	v_sub_u32_e32 v8, v4, v8
	v_sub_u32_e32 v4, v3, v12
	v_mul_lo_u32 v3, v7, s11
	v_add_u32_e32 v14, s19, v4
	v_sub_u32_e32 v7, v1, v13
	v_cmp_gt_i32_e32 vcc, 0, v14
	v_mad_u64_u32 v[3:4], s[2:3], v8, s10, v[3:4]
	v_add_u32_e32 v4, s18, v7
	v_cmp_gt_i32_e64 s[4:5], 0, v4
	v_mul_lo_u32 v3, s15, v3
	v_cmp_le_i32_e64 s[6:7], s14, v4
	s_or_b64 s[4:5], s[4:5], s[6:7]
	v_cmp_le_i32_e64 s[2:3], s15, v14
	v_add3_u32 v3, s19, v5, v3
	v_sub_u32_e32 v3, v3, v12
	v_sub_u32_e32 v3, v3, v6
	v_mad_u64_u32 v[3:4], s[6:7], s14, v3, v[0:1]
	v_mul_lo_u32 v5, s36, v8
	s_or_b64 s[2:3], vcc, s[2:3]
	v_sub_u32_e32 v7, v3, v13
	v_mov_b32_e32 v3, 0
	s_nor_b64 s[2:3], s[2:3], s[4:5]
	v_mov_b32_e32 v4, 0
	s_mov_b32 s6, s10
	s_branch .LBB22_7
.LBB22_6:                               ;   in Loop: Header=BB22_7 Depth=2
	s_or_b64 exec, exec, s[4:5]
	s_add_i32 s6, s6, -1
	v_add_u32_e32 v5, s35, v5
	s_cmp_eq_u32 s6, 0
	v_add_u32_e32 v7, s37, v7
	s_cbranch_scc1 .LBB22_3
.LBB22_7:                               ;   Parent Loop BB22_4 Depth=1
                                        ; =>  This Inner Loop Header: Depth=2
	s_and_saveexec_b64 s[4:5], s[2:3]
	s_cbranch_execz .LBB22_6
; %bb.8:                                ;   in Loop: Header=BB22_7 Depth=2
	v_ashrrev_i32_e32 v8, 31, v7
	v_lshlrev_b64 v[12:13], 3, v[7:8]
	v_mov_b32_e32 v6, s21
	v_add_co_u32_e32 v12, vcc, s20, v12
	v_addc_co_u32_e32 v13, vcc, v6, v13, vcc
	v_ashrrev_i32_e32 v6, 31, v5
	v_lshlrev_b64 v[14:15], 3, v[5:6]
	v_mov_b32_e32 v6, s25
	v_add_co_u32_e32 v14, vcc, s24, v14
	v_addc_co_u32_e32 v15, vcc, v6, v15, vcc
	global_load_dwordx2 v[16:17], v[14:15], off
	global_load_dwordx2 v[18:19], v[12:13], off
	s_waitcnt vmcnt(0)
	v_fma_f64 v[3:4], v[16:17], v[18:19], v[3:4]
	s_branch .LBB22_6
.LBB22_9:
	s_endpgm
	.section	.rodata,"a",@progbits
	.p2align	6, 0x0
	.amdhsa_kernel _ZN2at6native12_GLOBAL__N_132conv_depthwise2d_backward_kernelILi1ELi1EdiEEvN5torch10headeronly6detail27GenericPackedTensorAccessorINS5_14TensorAccessorIN3c108ArrayRefIlEEKT1_Lm3ENS4_16DefaultPtrTraitsEiEENS_6detail16IndexBoundsCheckILm4EiEESC_Lm4ESD_iEENS6_INS7_ISA_SB_Lm3ESD_iEESH_SB_Lm4ESD_iEESI_T2_iiiiiiiiiiiiiii
		.amdhsa_group_segment_fixed_size 0
		.amdhsa_private_segment_fixed_size 0
		.amdhsa_kernarg_size 440
		.amdhsa_user_sgpr_count 6
		.amdhsa_user_sgpr_private_segment_buffer 1
		.amdhsa_user_sgpr_dispatch_ptr 0
		.amdhsa_user_sgpr_queue_ptr 0
		.amdhsa_user_sgpr_kernarg_segment_ptr 1
		.amdhsa_user_sgpr_dispatch_id 0
		.amdhsa_user_sgpr_flat_scratch_init 0
		.amdhsa_user_sgpr_private_segment_size 0
		.amdhsa_uses_dynamic_stack 0
		.amdhsa_system_sgpr_private_segment_wavefront_offset 0
		.amdhsa_system_sgpr_workgroup_id_x 1
		.amdhsa_system_sgpr_workgroup_id_y 0
		.amdhsa_system_sgpr_workgroup_id_z 0
		.amdhsa_system_sgpr_workgroup_info 0
		.amdhsa_system_vgpr_workitem_id 0
		.amdhsa_next_free_vgpr 20
		.amdhsa_next_free_sgpr 40
		.amdhsa_reserve_vcc 1
		.amdhsa_reserve_flat_scratch 0
		.amdhsa_float_round_mode_32 0
		.amdhsa_float_round_mode_16_64 0
		.amdhsa_float_denorm_mode_32 3
		.amdhsa_float_denorm_mode_16_64 3
		.amdhsa_dx10_clamp 1
		.amdhsa_ieee_mode 1
		.amdhsa_fp16_overflow 0
		.amdhsa_exception_fp_ieee_invalid_op 0
		.amdhsa_exception_fp_denorm_src 0
		.amdhsa_exception_fp_ieee_div_zero 0
		.amdhsa_exception_fp_ieee_overflow 0
		.amdhsa_exception_fp_ieee_underflow 0
		.amdhsa_exception_fp_ieee_inexact 0
		.amdhsa_exception_int_div_zero 0
	.end_amdhsa_kernel
	.section	.text._ZN2at6native12_GLOBAL__N_132conv_depthwise2d_backward_kernelILi1ELi1EdiEEvN5torch10headeronly6detail27GenericPackedTensorAccessorINS5_14TensorAccessorIN3c108ArrayRefIlEEKT1_Lm3ENS4_16DefaultPtrTraitsEiEENS_6detail16IndexBoundsCheckILm4EiEESC_Lm4ESD_iEENS6_INS7_ISA_SB_Lm3ESD_iEESH_SB_Lm4ESD_iEESI_T2_iiiiiiiiiiiiiii,"axG",@progbits,_ZN2at6native12_GLOBAL__N_132conv_depthwise2d_backward_kernelILi1ELi1EdiEEvN5torch10headeronly6detail27GenericPackedTensorAccessorINS5_14TensorAccessorIN3c108ArrayRefIlEEKT1_Lm3ENS4_16DefaultPtrTraitsEiEENS_6detail16IndexBoundsCheckILm4EiEESC_Lm4ESD_iEENS6_INS7_ISA_SB_Lm3ESD_iEESH_SB_Lm4ESD_iEESI_T2_iiiiiiiiiiiiiii,comdat
.Lfunc_end22:
	.size	_ZN2at6native12_GLOBAL__N_132conv_depthwise2d_backward_kernelILi1ELi1EdiEEvN5torch10headeronly6detail27GenericPackedTensorAccessorINS5_14TensorAccessorIN3c108ArrayRefIlEEKT1_Lm3ENS4_16DefaultPtrTraitsEiEENS_6detail16IndexBoundsCheckILm4EiEESC_Lm4ESD_iEENS6_INS7_ISA_SB_Lm3ESD_iEESH_SB_Lm4ESD_iEESI_T2_iiiiiiiiiiiiiii, .Lfunc_end22-_ZN2at6native12_GLOBAL__N_132conv_depthwise2d_backward_kernelILi1ELi1EdiEEvN5torch10headeronly6detail27GenericPackedTensorAccessorINS5_14TensorAccessorIN3c108ArrayRefIlEEKT1_Lm3ENS4_16DefaultPtrTraitsEiEENS_6detail16IndexBoundsCheckILm4EiEESC_Lm4ESD_iEENS6_INS7_ISA_SB_Lm3ESD_iEESH_SB_Lm4ESD_iEESI_T2_iiiiiiiiiiiiiii
                                        ; -- End function
	.set _ZN2at6native12_GLOBAL__N_132conv_depthwise2d_backward_kernelILi1ELi1EdiEEvN5torch10headeronly6detail27GenericPackedTensorAccessorINS5_14TensorAccessorIN3c108ArrayRefIlEEKT1_Lm3ENS4_16DefaultPtrTraitsEiEENS_6detail16IndexBoundsCheckILm4EiEESC_Lm4ESD_iEENS6_INS7_ISA_SB_Lm3ESD_iEESH_SB_Lm4ESD_iEESI_T2_iiiiiiiiiiiiiii.num_vgpr, 20
	.set _ZN2at6native12_GLOBAL__N_132conv_depthwise2d_backward_kernelILi1ELi1EdiEEvN5torch10headeronly6detail27GenericPackedTensorAccessorINS5_14TensorAccessorIN3c108ArrayRefIlEEKT1_Lm3ENS4_16DefaultPtrTraitsEiEENS_6detail16IndexBoundsCheckILm4EiEESC_Lm4ESD_iEENS6_INS7_ISA_SB_Lm3ESD_iEESH_SB_Lm4ESD_iEESI_T2_iiiiiiiiiiiiiii.num_agpr, 0
	.set _ZN2at6native12_GLOBAL__N_132conv_depthwise2d_backward_kernelILi1ELi1EdiEEvN5torch10headeronly6detail27GenericPackedTensorAccessorINS5_14TensorAccessorIN3c108ArrayRefIlEEKT1_Lm3ENS4_16DefaultPtrTraitsEiEENS_6detail16IndexBoundsCheckILm4EiEESC_Lm4ESD_iEENS6_INS7_ISA_SB_Lm3ESD_iEESH_SB_Lm4ESD_iEESI_T2_iiiiiiiiiiiiiii.numbered_sgpr, 40
	.set _ZN2at6native12_GLOBAL__N_132conv_depthwise2d_backward_kernelILi1ELi1EdiEEvN5torch10headeronly6detail27GenericPackedTensorAccessorINS5_14TensorAccessorIN3c108ArrayRefIlEEKT1_Lm3ENS4_16DefaultPtrTraitsEiEENS_6detail16IndexBoundsCheckILm4EiEESC_Lm4ESD_iEENS6_INS7_ISA_SB_Lm3ESD_iEESH_SB_Lm4ESD_iEESI_T2_iiiiiiiiiiiiiii.num_named_barrier, 0
	.set _ZN2at6native12_GLOBAL__N_132conv_depthwise2d_backward_kernelILi1ELi1EdiEEvN5torch10headeronly6detail27GenericPackedTensorAccessorINS5_14TensorAccessorIN3c108ArrayRefIlEEKT1_Lm3ENS4_16DefaultPtrTraitsEiEENS_6detail16IndexBoundsCheckILm4EiEESC_Lm4ESD_iEENS6_INS7_ISA_SB_Lm3ESD_iEESH_SB_Lm4ESD_iEESI_T2_iiiiiiiiiiiiiii.private_seg_size, 0
	.set _ZN2at6native12_GLOBAL__N_132conv_depthwise2d_backward_kernelILi1ELi1EdiEEvN5torch10headeronly6detail27GenericPackedTensorAccessorINS5_14TensorAccessorIN3c108ArrayRefIlEEKT1_Lm3ENS4_16DefaultPtrTraitsEiEENS_6detail16IndexBoundsCheckILm4EiEESC_Lm4ESD_iEENS6_INS7_ISA_SB_Lm3ESD_iEESH_SB_Lm4ESD_iEESI_T2_iiiiiiiiiiiiiii.uses_vcc, 1
	.set _ZN2at6native12_GLOBAL__N_132conv_depthwise2d_backward_kernelILi1ELi1EdiEEvN5torch10headeronly6detail27GenericPackedTensorAccessorINS5_14TensorAccessorIN3c108ArrayRefIlEEKT1_Lm3ENS4_16DefaultPtrTraitsEiEENS_6detail16IndexBoundsCheckILm4EiEESC_Lm4ESD_iEENS6_INS7_ISA_SB_Lm3ESD_iEESH_SB_Lm4ESD_iEESI_T2_iiiiiiiiiiiiiii.uses_flat_scratch, 0
	.set _ZN2at6native12_GLOBAL__N_132conv_depthwise2d_backward_kernelILi1ELi1EdiEEvN5torch10headeronly6detail27GenericPackedTensorAccessorINS5_14TensorAccessorIN3c108ArrayRefIlEEKT1_Lm3ENS4_16DefaultPtrTraitsEiEENS_6detail16IndexBoundsCheckILm4EiEESC_Lm4ESD_iEENS6_INS7_ISA_SB_Lm3ESD_iEESH_SB_Lm4ESD_iEESI_T2_iiiiiiiiiiiiiii.has_dyn_sized_stack, 0
	.set _ZN2at6native12_GLOBAL__N_132conv_depthwise2d_backward_kernelILi1ELi1EdiEEvN5torch10headeronly6detail27GenericPackedTensorAccessorINS5_14TensorAccessorIN3c108ArrayRefIlEEKT1_Lm3ENS4_16DefaultPtrTraitsEiEENS_6detail16IndexBoundsCheckILm4EiEESC_Lm4ESD_iEENS6_INS7_ISA_SB_Lm3ESD_iEESH_SB_Lm4ESD_iEESI_T2_iiiiiiiiiiiiiii.has_recursion, 0
	.set _ZN2at6native12_GLOBAL__N_132conv_depthwise2d_backward_kernelILi1ELi1EdiEEvN5torch10headeronly6detail27GenericPackedTensorAccessorINS5_14TensorAccessorIN3c108ArrayRefIlEEKT1_Lm3ENS4_16DefaultPtrTraitsEiEENS_6detail16IndexBoundsCheckILm4EiEESC_Lm4ESD_iEENS6_INS7_ISA_SB_Lm3ESD_iEESH_SB_Lm4ESD_iEESI_T2_iiiiiiiiiiiiiii.has_indirect_call, 0
	.section	.AMDGPU.csdata,"",@progbits
; Kernel info:
; codeLenInByte = 920
; TotalNumSgprs: 44
; NumVgprs: 20
; ScratchSize: 0
; MemoryBound: 0
; FloatMode: 240
; IeeeMode: 1
; LDSByteSize: 0 bytes/workgroup (compile time only)
; SGPRBlocks: 5
; VGPRBlocks: 4
; NumSGPRsForWavesPerEU: 44
; NumVGPRsForWavesPerEU: 20
; Occupancy: 10
; WaveLimiterHint : 0
; COMPUTE_PGM_RSRC2:SCRATCH_EN: 0
; COMPUTE_PGM_RSRC2:USER_SGPR: 6
; COMPUTE_PGM_RSRC2:TRAP_HANDLER: 0
; COMPUTE_PGM_RSRC2:TGID_X_EN: 1
; COMPUTE_PGM_RSRC2:TGID_Y_EN: 0
; COMPUTE_PGM_RSRC2:TGID_Z_EN: 0
; COMPUTE_PGM_RSRC2:TIDIG_COMP_CNT: 0
	.section	.text._ZN2at6native12_GLOBAL__N_132conv_depthwise2d_backward_kernelILi1ELi2EdiEEvN5torch10headeronly6detail27GenericPackedTensorAccessorINS5_14TensorAccessorIN3c108ArrayRefIlEEKT1_Lm3ENS4_16DefaultPtrTraitsEiEENS_6detail16IndexBoundsCheckILm4EiEESC_Lm4ESD_iEENS6_INS7_ISA_SB_Lm3ESD_iEESH_SB_Lm4ESD_iEESI_T2_iiiiiiiiiiiiiii,"axG",@progbits,_ZN2at6native12_GLOBAL__N_132conv_depthwise2d_backward_kernelILi1ELi2EdiEEvN5torch10headeronly6detail27GenericPackedTensorAccessorINS5_14TensorAccessorIN3c108ArrayRefIlEEKT1_Lm3ENS4_16DefaultPtrTraitsEiEENS_6detail16IndexBoundsCheckILm4EiEESC_Lm4ESD_iEENS6_INS7_ISA_SB_Lm3ESD_iEESH_SB_Lm4ESD_iEESI_T2_iiiiiiiiiiiiiii,comdat
	.globl	_ZN2at6native12_GLOBAL__N_132conv_depthwise2d_backward_kernelILi1ELi2EdiEEvN5torch10headeronly6detail27GenericPackedTensorAccessorINS5_14TensorAccessorIN3c108ArrayRefIlEEKT1_Lm3ENS4_16DefaultPtrTraitsEiEENS_6detail16IndexBoundsCheckILm4EiEESC_Lm4ESD_iEENS6_INS7_ISA_SB_Lm3ESD_iEESH_SB_Lm4ESD_iEESI_T2_iiiiiiiiiiiiiii ; -- Begin function _ZN2at6native12_GLOBAL__N_132conv_depthwise2d_backward_kernelILi1ELi2EdiEEvN5torch10headeronly6detail27GenericPackedTensorAccessorINS5_14TensorAccessorIN3c108ArrayRefIlEEKT1_Lm3ENS4_16DefaultPtrTraitsEiEENS_6detail16IndexBoundsCheckILm4EiEESC_Lm4ESD_iEENS6_INS7_ISA_SB_Lm3ESD_iEESH_SB_Lm4ESD_iEESI_T2_iiiiiiiiiiiiiii
	.p2align	8
	.type	_ZN2at6native12_GLOBAL__N_132conv_depthwise2d_backward_kernelILi1ELi2EdiEEvN5torch10headeronly6detail27GenericPackedTensorAccessorINS5_14TensorAccessorIN3c108ArrayRefIlEEKT1_Lm3ENS4_16DefaultPtrTraitsEiEENS_6detail16IndexBoundsCheckILm4EiEESC_Lm4ESD_iEENS6_INS7_ISA_SB_Lm3ESD_iEESH_SB_Lm4ESD_iEESI_T2_iiiiiiiiiiiiiii,@function
_ZN2at6native12_GLOBAL__N_132conv_depthwise2d_backward_kernelILi1ELi2EdiEEvN5torch10headeronly6detail27GenericPackedTensorAccessorINS5_14TensorAccessorIN3c108ArrayRefIlEEKT1_Lm3ENS4_16DefaultPtrTraitsEiEENS_6detail16IndexBoundsCheckILm4EiEESC_Lm4ESD_iEENS6_INS7_ISA_SB_Lm3ESD_iEESH_SB_Lm4ESD_iEESI_T2_iiiiiiiiiiiiiii: ; @_ZN2at6native12_GLOBAL__N_132conv_depthwise2d_backward_kernelILi1ELi2EdiEEvN5torch10headeronly6detail27GenericPackedTensorAccessorINS5_14TensorAccessorIN3c108ArrayRefIlEEKT1_Lm3ENS4_16DefaultPtrTraitsEiEENS_6detail16IndexBoundsCheckILm4EiEESC_Lm4ESD_iEENS6_INS7_ISA_SB_Lm3ESD_iEESH_SB_Lm4ESD_iEESI_T2_iiiiiiiiiiiiiii
; %bb.0:
	s_load_dword s2, s[4:5], 0xc4
	s_load_dwordx8 s[12:19], s[4:5], 0x78
	s_add_u32 s0, s4, 0xb8
	s_addc_u32 s1, s5, 0
	v_mov_b32_e32 v1, 0
	s_waitcnt lgkmcnt(0)
	s_and_b32 s2, s2, 0xffff
	v_mov_b32_e32 v2, s6
	v_mad_u64_u32 v[0:1], s[6:7], s2, v2, v[0:1]
	s_ashr_i32 s11, s12, 31
	s_mov_b32 s10, s12
	v_cmp_gt_i64_e32 vcc, s[10:11], v[0:1]
	s_and_saveexec_b64 s[6:7], vcc
	s_cbranch_execz .LBB23_9
; %bb.1:
	s_cmp_gt_i32 s14, 0
	s_cselect_b64 s[6:7], -1, 0
	s_abs_i32 s12, s16
	v_cvt_f32_u32_e32 v2, s12
	s_abs_i32 s30, s17
	v_cvt_f32_u32_e32 v3, s30
	s_abs_i32 s31, s13
	v_rcp_iflag_f32_e32 v2, v2
	v_cvt_f32_u32_e32 v4, s31
	v_rcp_iflag_f32_e32 v3, v3
	s_load_dwordx2 s[8:9], s[4:5], 0x98
	s_load_dwordx2 s[22:23], s[4:5], 0x0
	s_load_dwordx2 s[24:25], s[4:5], 0x28
	s_load_dwordx2 s[26:27], s[4:5], 0x50
	s_load_dword s3, s[0:1], 0x0
	v_mul_f32_e32 v2, 0x4f7ffffe, v2
	v_rcp_iflag_f32_e32 v4, v4
	v_cvt_u32_f32_e32 v2, v2
	v_mul_f32_e32 v3, 0x4f7ffffe, v3
	s_sub_i32 s0, 0, s12
	v_cvt_u32_f32_e32 v3, v3
	v_mul_f32_e32 v4, 0x4f7ffffe, v4
	v_mul_lo_u32 v5, s0, v2
	v_cvt_u32_f32_e32 v4, v4
	s_sub_i32 s0, 0, s30
	v_mul_lo_u32 v6, s0, v3
	s_sub_i32 s0, 0, s31
	v_mul_hi_u32 v5, v2, v5
	v_mul_lo_u32 v7, s0, v4
	s_load_dwordx2 s[20:21], s[4:5], 0xa8
	v_mul_hi_u32 v6, v3, v6
	v_add_u32_e32 v8, v2, v5
	v_mul_hi_u32 v2, v4, v7
	s_waitcnt lgkmcnt(0)
	s_mul_i32 s37, s9, s8
	s_mul_i32 s33, s3, s2
	s_ashr_i32 s34, s16, 31
	v_add_u32_e32 v10, v4, v2
	v_cndmask_b32_e64 v2, 0, 1, s[6:7]
	s_ashr_i32 s35, s17, 31
	v_add_u32_e32 v9, v3, v6
	s_ashr_i32 s36, s13, 31
	s_mul_i32 s38, s37, s14
	s_mul_i32 s39, s19, s18
	s_mov_b64 s[28:29], 0
	v_cmp_ne_u32_e64 s[0:1], 1, v2
	s_branch .LBB23_4
.LBB23_2:                               ;   in Loop: Header=BB23_4 Depth=1
	v_mov_b32_e32 v2, 0
	v_mov_b32_e32 v3, 0
.LBB23_3:                               ;   in Loop: Header=BB23_4 Depth=1
	v_lshlrev_b64 v[4:5], 3, v[0:1]
	v_add_co_u32_e32 v0, vcc, s33, v0
	v_addc_co_u32_e32 v1, vcc, 0, v1, vcc
	v_cmp_le_i64_e32 vcc, s[10:11], v[0:1]
	v_mov_b32_e32 v6, s25
	v_add_co_u32_e64 v4, s[2:3], s24, v4
	v_addc_co_u32_e64 v5, s[2:3], v6, v5, s[2:3]
	s_or_b64 s[28:29], vcc, s[28:29]
	global_store_dwordx2 v[4:5], v[2:3], off
	s_andn2_b64 exec, exec, s[28:29]
	s_cbranch_execz .LBB23_9
.LBB23_4:                               ; =>This Loop Header: Depth=1
                                        ;     Child Loop BB23_7 Depth 2
	s_and_b64 vcc, exec, s[0:1]
	s_cbranch_vccnz .LBB23_2
; %bb.5:                                ;   in Loop: Header=BB23_4 Depth=1
	v_sub_u32_e32 v2, 0, v0
	v_max_i32_e32 v2, v0, v2
	v_mul_hi_u32 v3, v2, v8
	v_ashrrev_i32_e32 v5, 31, v0
	v_xor_b32_e32 v5, s34, v5
	v_mul_lo_u32 v4, v3, s12
	v_add_u32_e32 v6, 1, v3
	v_sub_u32_e32 v2, v2, v4
	v_cmp_le_u32_e32 vcc, s12, v2
	v_subrev_u32_e32 v4, s12, v2
	v_cndmask_b32_e32 v3, v3, v6, vcc
	v_cndmask_b32_e32 v2, v2, v4, vcc
	v_add_u32_e32 v4, 1, v3
	v_cmp_le_u32_e32 vcc, s12, v2
	v_cndmask_b32_e32 v2, v3, v4, vcc
	v_xor_b32_e32 v2, v2, v5
	v_sub_u32_e32 v2, v2, v5
	v_sub_u32_e32 v3, 0, v2
	v_max_i32_e32 v3, v2, v3
	v_mul_hi_u32 v4, v3, v9
	v_ashrrev_i32_e32 v6, 31, v2
	v_xor_b32_e32 v6, s35, v6
	v_mul_lo_u32 v5, v4, s30
	v_add_u32_e32 v7, 1, v4
	v_sub_u32_e32 v3, v3, v5
	v_cmp_le_u32_e32 vcc, s30, v3
	v_subrev_u32_e32 v5, s30, v3
	v_cndmask_b32_e32 v4, v4, v7, vcc
	v_cndmask_b32_e32 v3, v3, v5, vcc
	v_add_u32_e32 v5, 1, v4
	v_cmp_le_u32_e32 vcc, s30, v3
	v_cndmask_b32_e32 v3, v4, v5, vcc
	v_xor_b32_e32 v3, v3, v6
	v_sub_u32_e32 v3, v3, v6
	;; [unrolled: 17-line block ×3, first 2 shown]
	v_mul_lo_u32 v5, v4, s13
	v_mul_lo_u32 v6, v3, s17
	;; [unrolled: 1-line block ×4, first 2 shown]
	v_sub_u32_e32 v11, v3, v5
	v_sub_u32_e32 v2, v2, v6
	v_sub_u32_e32 v3, v0, v7
	v_add_u32_e32 v2, s21, v2
	v_add_u32_e32 v3, s20, v3
	v_or_b32_e32 v5, v2, v3
	v_and_b32_e32 v5, 1, v5
	v_cmp_eq_u32_e32 vcc, 1, v5
	v_mad_u64_u32 v[4:5], s[40:41], v11, s14, v[4:5]
	v_ashrrev_i32_e32 v2, 1, v2
	v_ashrrev_i32_e32 v3, 1, v3
	v_cmp_gt_i32_e64 s[2:3], 0, v2
	v_cmp_le_i32_e64 s[4:5], s19, v2
	s_or_b64 s[2:3], s[2:3], s[4:5]
	v_mad_u64_u32 v[5:6], s[4:5], s19, v4, v[2:3]
	v_mul_lo_u32 v4, s38, v11
	v_cmp_gt_i32_e64 s[6:7], 0, v3
	v_cmp_le_i32_e64 s[8:9], s18, v3
	s_or_b64 s[6:7], s[6:7], s[8:9]
	v_mad_u64_u32 v[6:7], s[4:5], s18, v5, v[3:4]
	s_or_b64 s[2:3], vcc, s[2:3]
	v_mov_b32_e32 v2, 0
	s_nor_b64 s[2:3], s[2:3], s[6:7]
	v_mov_b32_e32 v3, 0
	s_mov_b32 s6, s14
	s_branch .LBB23_7
.LBB23_6:                               ;   in Loop: Header=BB23_7 Depth=2
	s_or_b64 exec, exec, s[4:5]
	s_add_i32 s6, s6, -1
	v_add_u32_e32 v4, s37, v4
	s_cmp_eq_u32 s6, 0
	v_add_u32_e32 v6, s39, v6
	s_cbranch_scc1 .LBB23_3
.LBB23_7:                               ;   Parent Loop BB23_4 Depth=1
                                        ; =>  This Inner Loop Header: Depth=2
	s_and_saveexec_b64 s[4:5], s[2:3]
	s_cbranch_execz .LBB23_6
; %bb.8:                                ;   in Loop: Header=BB23_7 Depth=2
	v_ashrrev_i32_e32 v7, 31, v6
	v_lshlrev_b64 v[11:12], 3, v[6:7]
	v_mov_b32_e32 v5, s23
	v_add_co_u32_e32 v11, vcc, s22, v11
	v_addc_co_u32_e32 v12, vcc, v5, v12, vcc
	v_ashrrev_i32_e32 v5, 31, v4
	v_lshlrev_b64 v[13:14], 3, v[4:5]
	v_mov_b32_e32 v5, s27
	v_add_co_u32_e32 v13, vcc, s26, v13
	v_addc_co_u32_e32 v14, vcc, v5, v14, vcc
	global_load_dwordx2 v[15:16], v[13:14], off
	global_load_dwordx2 v[17:18], v[11:12], off
	s_waitcnt vmcnt(0)
	v_fma_f64 v[2:3], v[15:16], v[17:18], v[2:3]
	s_branch .LBB23_6
.LBB23_9:
	s_endpgm
	.section	.rodata,"a",@progbits
	.p2align	6, 0x0
	.amdhsa_kernel _ZN2at6native12_GLOBAL__N_132conv_depthwise2d_backward_kernelILi1ELi2EdiEEvN5torch10headeronly6detail27GenericPackedTensorAccessorINS5_14TensorAccessorIN3c108ArrayRefIlEEKT1_Lm3ENS4_16DefaultPtrTraitsEiEENS_6detail16IndexBoundsCheckILm4EiEESC_Lm4ESD_iEENS6_INS7_ISA_SB_Lm3ESD_iEESH_SB_Lm4ESD_iEESI_T2_iiiiiiiiiiiiiii
		.amdhsa_group_segment_fixed_size 0
		.amdhsa_private_segment_fixed_size 0
		.amdhsa_kernarg_size 440
		.amdhsa_user_sgpr_count 6
		.amdhsa_user_sgpr_private_segment_buffer 1
		.amdhsa_user_sgpr_dispatch_ptr 0
		.amdhsa_user_sgpr_queue_ptr 0
		.amdhsa_user_sgpr_kernarg_segment_ptr 1
		.amdhsa_user_sgpr_dispatch_id 0
		.amdhsa_user_sgpr_flat_scratch_init 0
		.amdhsa_user_sgpr_private_segment_size 0
		.amdhsa_uses_dynamic_stack 0
		.amdhsa_system_sgpr_private_segment_wavefront_offset 0
		.amdhsa_system_sgpr_workgroup_id_x 1
		.amdhsa_system_sgpr_workgroup_id_y 0
		.amdhsa_system_sgpr_workgroup_id_z 0
		.amdhsa_system_sgpr_workgroup_info 0
		.amdhsa_system_vgpr_workitem_id 0
		.amdhsa_next_free_vgpr 19
		.amdhsa_next_free_sgpr 42
		.amdhsa_reserve_vcc 1
		.amdhsa_reserve_flat_scratch 0
		.amdhsa_float_round_mode_32 0
		.amdhsa_float_round_mode_16_64 0
		.amdhsa_float_denorm_mode_32 3
		.amdhsa_float_denorm_mode_16_64 3
		.amdhsa_dx10_clamp 1
		.amdhsa_ieee_mode 1
		.amdhsa_fp16_overflow 0
		.amdhsa_exception_fp_ieee_invalid_op 0
		.amdhsa_exception_fp_denorm_src 0
		.amdhsa_exception_fp_ieee_div_zero 0
		.amdhsa_exception_fp_ieee_overflow 0
		.amdhsa_exception_fp_ieee_underflow 0
		.amdhsa_exception_fp_ieee_inexact 0
		.amdhsa_exception_int_div_zero 0
	.end_amdhsa_kernel
	.section	.text._ZN2at6native12_GLOBAL__N_132conv_depthwise2d_backward_kernelILi1ELi2EdiEEvN5torch10headeronly6detail27GenericPackedTensorAccessorINS5_14TensorAccessorIN3c108ArrayRefIlEEKT1_Lm3ENS4_16DefaultPtrTraitsEiEENS_6detail16IndexBoundsCheckILm4EiEESC_Lm4ESD_iEENS6_INS7_ISA_SB_Lm3ESD_iEESH_SB_Lm4ESD_iEESI_T2_iiiiiiiiiiiiiii,"axG",@progbits,_ZN2at6native12_GLOBAL__N_132conv_depthwise2d_backward_kernelILi1ELi2EdiEEvN5torch10headeronly6detail27GenericPackedTensorAccessorINS5_14TensorAccessorIN3c108ArrayRefIlEEKT1_Lm3ENS4_16DefaultPtrTraitsEiEENS_6detail16IndexBoundsCheckILm4EiEESC_Lm4ESD_iEENS6_INS7_ISA_SB_Lm3ESD_iEESH_SB_Lm4ESD_iEESI_T2_iiiiiiiiiiiiiii,comdat
.Lfunc_end23:
	.size	_ZN2at6native12_GLOBAL__N_132conv_depthwise2d_backward_kernelILi1ELi2EdiEEvN5torch10headeronly6detail27GenericPackedTensorAccessorINS5_14TensorAccessorIN3c108ArrayRefIlEEKT1_Lm3ENS4_16DefaultPtrTraitsEiEENS_6detail16IndexBoundsCheckILm4EiEESC_Lm4ESD_iEENS6_INS7_ISA_SB_Lm3ESD_iEESH_SB_Lm4ESD_iEESI_T2_iiiiiiiiiiiiiii, .Lfunc_end23-_ZN2at6native12_GLOBAL__N_132conv_depthwise2d_backward_kernelILi1ELi2EdiEEvN5torch10headeronly6detail27GenericPackedTensorAccessorINS5_14TensorAccessorIN3c108ArrayRefIlEEKT1_Lm3ENS4_16DefaultPtrTraitsEiEENS_6detail16IndexBoundsCheckILm4EiEESC_Lm4ESD_iEENS6_INS7_ISA_SB_Lm3ESD_iEESH_SB_Lm4ESD_iEESI_T2_iiiiiiiiiiiiiii
                                        ; -- End function
	.set _ZN2at6native12_GLOBAL__N_132conv_depthwise2d_backward_kernelILi1ELi2EdiEEvN5torch10headeronly6detail27GenericPackedTensorAccessorINS5_14TensorAccessorIN3c108ArrayRefIlEEKT1_Lm3ENS4_16DefaultPtrTraitsEiEENS_6detail16IndexBoundsCheckILm4EiEESC_Lm4ESD_iEENS6_INS7_ISA_SB_Lm3ESD_iEESH_SB_Lm4ESD_iEESI_T2_iiiiiiiiiiiiiii.num_vgpr, 19
	.set _ZN2at6native12_GLOBAL__N_132conv_depthwise2d_backward_kernelILi1ELi2EdiEEvN5torch10headeronly6detail27GenericPackedTensorAccessorINS5_14TensorAccessorIN3c108ArrayRefIlEEKT1_Lm3ENS4_16DefaultPtrTraitsEiEENS_6detail16IndexBoundsCheckILm4EiEESC_Lm4ESD_iEENS6_INS7_ISA_SB_Lm3ESD_iEESH_SB_Lm4ESD_iEESI_T2_iiiiiiiiiiiiiii.num_agpr, 0
	.set _ZN2at6native12_GLOBAL__N_132conv_depthwise2d_backward_kernelILi1ELi2EdiEEvN5torch10headeronly6detail27GenericPackedTensorAccessorINS5_14TensorAccessorIN3c108ArrayRefIlEEKT1_Lm3ENS4_16DefaultPtrTraitsEiEENS_6detail16IndexBoundsCheckILm4EiEESC_Lm4ESD_iEENS6_INS7_ISA_SB_Lm3ESD_iEESH_SB_Lm4ESD_iEESI_T2_iiiiiiiiiiiiiii.numbered_sgpr, 42
	.set _ZN2at6native12_GLOBAL__N_132conv_depthwise2d_backward_kernelILi1ELi2EdiEEvN5torch10headeronly6detail27GenericPackedTensorAccessorINS5_14TensorAccessorIN3c108ArrayRefIlEEKT1_Lm3ENS4_16DefaultPtrTraitsEiEENS_6detail16IndexBoundsCheckILm4EiEESC_Lm4ESD_iEENS6_INS7_ISA_SB_Lm3ESD_iEESH_SB_Lm4ESD_iEESI_T2_iiiiiiiiiiiiiii.num_named_barrier, 0
	.set _ZN2at6native12_GLOBAL__N_132conv_depthwise2d_backward_kernelILi1ELi2EdiEEvN5torch10headeronly6detail27GenericPackedTensorAccessorINS5_14TensorAccessorIN3c108ArrayRefIlEEKT1_Lm3ENS4_16DefaultPtrTraitsEiEENS_6detail16IndexBoundsCheckILm4EiEESC_Lm4ESD_iEENS6_INS7_ISA_SB_Lm3ESD_iEESH_SB_Lm4ESD_iEESI_T2_iiiiiiiiiiiiiii.private_seg_size, 0
	.set _ZN2at6native12_GLOBAL__N_132conv_depthwise2d_backward_kernelILi1ELi2EdiEEvN5torch10headeronly6detail27GenericPackedTensorAccessorINS5_14TensorAccessorIN3c108ArrayRefIlEEKT1_Lm3ENS4_16DefaultPtrTraitsEiEENS_6detail16IndexBoundsCheckILm4EiEESC_Lm4ESD_iEENS6_INS7_ISA_SB_Lm3ESD_iEESH_SB_Lm4ESD_iEESI_T2_iiiiiiiiiiiiiii.uses_vcc, 1
	.set _ZN2at6native12_GLOBAL__N_132conv_depthwise2d_backward_kernelILi1ELi2EdiEEvN5torch10headeronly6detail27GenericPackedTensorAccessorINS5_14TensorAccessorIN3c108ArrayRefIlEEKT1_Lm3ENS4_16DefaultPtrTraitsEiEENS_6detail16IndexBoundsCheckILm4EiEESC_Lm4ESD_iEENS6_INS7_ISA_SB_Lm3ESD_iEESH_SB_Lm4ESD_iEESI_T2_iiiiiiiiiiiiiii.uses_flat_scratch, 0
	.set _ZN2at6native12_GLOBAL__N_132conv_depthwise2d_backward_kernelILi1ELi2EdiEEvN5torch10headeronly6detail27GenericPackedTensorAccessorINS5_14TensorAccessorIN3c108ArrayRefIlEEKT1_Lm3ENS4_16DefaultPtrTraitsEiEENS_6detail16IndexBoundsCheckILm4EiEESC_Lm4ESD_iEENS6_INS7_ISA_SB_Lm3ESD_iEESH_SB_Lm4ESD_iEESI_T2_iiiiiiiiiiiiiii.has_dyn_sized_stack, 0
	.set _ZN2at6native12_GLOBAL__N_132conv_depthwise2d_backward_kernelILi1ELi2EdiEEvN5torch10headeronly6detail27GenericPackedTensorAccessorINS5_14TensorAccessorIN3c108ArrayRefIlEEKT1_Lm3ENS4_16DefaultPtrTraitsEiEENS_6detail16IndexBoundsCheckILm4EiEESC_Lm4ESD_iEENS6_INS7_ISA_SB_Lm3ESD_iEESH_SB_Lm4ESD_iEESI_T2_iiiiiiiiiiiiiii.has_recursion, 0
	.set _ZN2at6native12_GLOBAL__N_132conv_depthwise2d_backward_kernelILi1ELi2EdiEEvN5torch10headeronly6detail27GenericPackedTensorAccessorINS5_14TensorAccessorIN3c108ArrayRefIlEEKT1_Lm3ENS4_16DefaultPtrTraitsEiEENS_6detail16IndexBoundsCheckILm4EiEESC_Lm4ESD_iEENS6_INS7_ISA_SB_Lm3ESD_iEESH_SB_Lm4ESD_iEESI_T2_iiiiiiiiiiiiiii.has_indirect_call, 0
	.section	.AMDGPU.csdata,"",@progbits
; Kernel info:
; codeLenInByte = 920
; TotalNumSgprs: 46
; NumVgprs: 19
; ScratchSize: 0
; MemoryBound: 0
; FloatMode: 240
; IeeeMode: 1
; LDSByteSize: 0 bytes/workgroup (compile time only)
; SGPRBlocks: 5
; VGPRBlocks: 4
; NumSGPRsForWavesPerEU: 46
; NumVGPRsForWavesPerEU: 19
; Occupancy: 10
; WaveLimiterHint : 0
; COMPUTE_PGM_RSRC2:SCRATCH_EN: 0
; COMPUTE_PGM_RSRC2:USER_SGPR: 6
; COMPUTE_PGM_RSRC2:TRAP_HANDLER: 0
; COMPUTE_PGM_RSRC2:TGID_X_EN: 1
; COMPUTE_PGM_RSRC2:TGID_Y_EN: 0
; COMPUTE_PGM_RSRC2:TGID_Z_EN: 0
; COMPUTE_PGM_RSRC2:TIDIG_COMP_CNT: 0
	.section	.text._ZN2at6native12_GLOBAL__N_132conv_depthwise2d_backward_kernelILi1ELi0EdiEEvN5torch10headeronly6detail27GenericPackedTensorAccessorINS5_14TensorAccessorIN3c108ArrayRefIlEEKT1_Lm3ENS4_16DefaultPtrTraitsEiEENS_6detail16IndexBoundsCheckILm4EiEESC_Lm4ESD_iEENS6_INS7_ISA_SB_Lm3ESD_iEESH_SB_Lm4ESD_iEESI_T2_iiiiiiiiiiiiiii,"axG",@progbits,_ZN2at6native12_GLOBAL__N_132conv_depthwise2d_backward_kernelILi1ELi0EdiEEvN5torch10headeronly6detail27GenericPackedTensorAccessorINS5_14TensorAccessorIN3c108ArrayRefIlEEKT1_Lm3ENS4_16DefaultPtrTraitsEiEENS_6detail16IndexBoundsCheckILm4EiEESC_Lm4ESD_iEENS6_INS7_ISA_SB_Lm3ESD_iEESH_SB_Lm4ESD_iEESI_T2_iiiiiiiiiiiiiii,comdat
	.globl	_ZN2at6native12_GLOBAL__N_132conv_depthwise2d_backward_kernelILi1ELi0EdiEEvN5torch10headeronly6detail27GenericPackedTensorAccessorINS5_14TensorAccessorIN3c108ArrayRefIlEEKT1_Lm3ENS4_16DefaultPtrTraitsEiEENS_6detail16IndexBoundsCheckILm4EiEESC_Lm4ESD_iEENS6_INS7_ISA_SB_Lm3ESD_iEESH_SB_Lm4ESD_iEESI_T2_iiiiiiiiiiiiiii ; -- Begin function _ZN2at6native12_GLOBAL__N_132conv_depthwise2d_backward_kernelILi1ELi0EdiEEvN5torch10headeronly6detail27GenericPackedTensorAccessorINS5_14TensorAccessorIN3c108ArrayRefIlEEKT1_Lm3ENS4_16DefaultPtrTraitsEiEENS_6detail16IndexBoundsCheckILm4EiEESC_Lm4ESD_iEENS6_INS7_ISA_SB_Lm3ESD_iEESH_SB_Lm4ESD_iEESI_T2_iiiiiiiiiiiiiii
	.p2align	8
	.type	_ZN2at6native12_GLOBAL__N_132conv_depthwise2d_backward_kernelILi1ELi0EdiEEvN5torch10headeronly6detail27GenericPackedTensorAccessorINS5_14TensorAccessorIN3c108ArrayRefIlEEKT1_Lm3ENS4_16DefaultPtrTraitsEiEENS_6detail16IndexBoundsCheckILm4EiEESC_Lm4ESD_iEENS6_INS7_ISA_SB_Lm3ESD_iEESH_SB_Lm4ESD_iEESI_T2_iiiiiiiiiiiiiii,@function
_ZN2at6native12_GLOBAL__N_132conv_depthwise2d_backward_kernelILi1ELi0EdiEEvN5torch10headeronly6detail27GenericPackedTensorAccessorINS5_14TensorAccessorIN3c108ArrayRefIlEEKT1_Lm3ENS4_16DefaultPtrTraitsEiEENS_6detail16IndexBoundsCheckILm4EiEESC_Lm4ESD_iEENS6_INS7_ISA_SB_Lm3ESD_iEESH_SB_Lm4ESD_iEESI_T2_iiiiiiiiiiiiiii: ; @_ZN2at6native12_GLOBAL__N_132conv_depthwise2d_backward_kernelILi1ELi0EdiEEvN5torch10headeronly6detail27GenericPackedTensorAccessorINS5_14TensorAccessorIN3c108ArrayRefIlEEKT1_Lm3ENS4_16DefaultPtrTraitsEiEENS_6detail16IndexBoundsCheckILm4EiEESC_Lm4ESD_iEENS6_INS7_ISA_SB_Lm3ESD_iEESH_SB_Lm4ESD_iEESI_T2_iiiiiiiiiiiiiii
; %bb.0:
	s_load_dword s2, s[4:5], 0xc4
	s_load_dwordx8 s[8:15], s[4:5], 0x78
	s_add_u32 s0, s4, 0xb8
	s_addc_u32 s1, s5, 0
	v_mov_b32_e32 v1, 0
	s_waitcnt lgkmcnt(0)
	s_and_b32 s2, s2, 0xffff
	v_mov_b32_e32 v2, s6
	v_mad_u64_u32 v[0:1], s[6:7], s2, v2, v[0:1]
	s_ashr_i32 s21, s8, 31
	s_mov_b32 s20, s8
	v_cmp_gt_i64_e32 vcc, s[20:21], v[0:1]
	s_and_saveexec_b64 s[6:7], vcc
	s_cbranch_execz .LBB24_13
; %bb.1:
	s_cmp_gt_i32 s10, 0
	s_load_dwordx4 s[16:19], s[4:5], 0x98
	s_load_dwordx2 s[22:23], s[4:5], 0xa8
	s_load_dword s3, s[0:1], 0x0
	s_cselect_b64 s[0:1], -1, 0
	s_abs_i32 s8, s12
	v_cvt_f32_u32_e32 v2, s8
	s_abs_i32 s33, s13
	v_cvt_f32_u32_e32 v3, s33
	s_waitcnt lgkmcnt(0)
	s_mul_i32 s38, s3, s2
	v_rcp_iflag_f32_e32 v2, v2
	s_sub_i32 s2, 0, s8
	v_rcp_iflag_f32_e32 v3, v3
	s_abs_i32 s40, s9
	v_mul_f32_e32 v2, 0x4f7ffffe, v2
	v_cvt_u32_f32_e32 v2, v2
	v_mul_f32_e32 v3, 0x4f7ffffe, v3
	v_cvt_f32_u32_e32 v5, s40
	v_cvt_u32_f32_e32 v3, v3
	v_mul_lo_u32 v4, s2, v2
	s_sub_i32 s2, 0, s33
	v_rcp_iflag_f32_e32 v5, v5
	v_mul_lo_u32 v6, s2, v3
	v_mul_hi_u32 v4, v2, v4
	s_abs_i32 s42, s19
	s_abs_i32 s43, s18
	s_sub_i32 s2, 0, s40
	v_add_u32_e32 v8, v2, v4
	v_mul_f32_e32 v4, 0x4f7ffffe, v5
	v_cvt_f32_u32_e32 v5, s42
	v_mul_hi_u32 v2, v3, v6
	v_cvt_f32_u32_e32 v6, s43
	v_cvt_u32_f32_e32 v4, v4
	v_rcp_iflag_f32_e32 v5, v5
	v_add_u32_e32 v9, v3, v2
	v_rcp_iflag_f32_e32 v2, v6
	v_mul_lo_u32 v7, s2, v4
	v_mul_f32_e32 v5, 0x4f7ffffe, v5
	v_cvt_u32_f32_e32 v5, v5
	v_mul_f32_e32 v2, 0x4f7ffffe, v2
	v_cvt_u32_f32_e32 v2, v2
	s_sub_i32 s2, 0, s42
	v_mul_lo_u32 v6, s2, v5
	s_sub_i32 s2, 0, s43
	v_mul_hi_u32 v3, v4, v7
	v_mul_lo_u32 v7, s2, v2
	s_load_dwordx2 s[24:25], s[4:5], 0x0
	s_load_dwordx2 s[26:27], s[4:5], 0x28
	s_load_dwordx2 s[28:29], s[4:5], 0x50
	v_mul_hi_u32 v6, v5, v6
	v_add_u32_e32 v10, v4, v3
	v_mul_hi_u32 v3, v2, v7
	s_mul_i32 s47, s17, s16
	s_ashr_i32 s39, s12, 31
	s_ashr_i32 s41, s13, 31
	v_add_u32_e32 v12, v2, v3
	v_cndmask_b32_e64 v2, 0, 1, s[0:1]
	s_ashr_i32 s44, s9, 31
	s_ashr_i32 s45, s19, 31
	v_add_u32_e32 v11, v5, v6
	s_ashr_i32 s46, s18, 31
	s_mul_i32 s48, s47, s10
	s_mul_i32 s49, s15, s14
	s_mov_b64 s[16:17], 0
	v_cmp_ne_u32_e64 s[0:1], 1, v2
	s_branch .LBB24_4
.LBB24_2:                               ;   in Loop: Header=BB24_4 Depth=1
	v_mov_b32_e32 v2, 0
	v_mov_b32_e32 v3, 0
.LBB24_3:                               ;   in Loop: Header=BB24_4 Depth=1
	v_lshlrev_b64 v[4:5], 3, v[0:1]
	v_add_co_u32_e32 v0, vcc, s38, v0
	v_addc_co_u32_e32 v1, vcc, 0, v1, vcc
	v_cmp_le_i64_e32 vcc, s[20:21], v[0:1]
	s_waitcnt lgkmcnt(0)
	v_mov_b32_e32 v6, s27
	v_add_co_u32_e64 v4, s[2:3], s26, v4
	v_addc_co_u32_e64 v5, s[2:3], v6, v5, s[2:3]
	s_or_b64 s[16:17], vcc, s[16:17]
	global_store_dwordx2 v[4:5], v[2:3], off
	s_andn2_b64 exec, exec, s[16:17]
	s_cbranch_execz .LBB24_13
.LBB24_4:                               ; =>This Loop Header: Depth=1
                                        ;     Child Loop BB24_9 Depth 2
	s_and_b64 vcc, exec, s[0:1]
	s_cbranch_vccnz .LBB24_2
; %bb.5:                                ;   in Loop: Header=BB24_4 Depth=1
	v_sub_u32_e32 v2, 0, v0
	v_max_i32_e32 v2, v0, v2
	v_mul_hi_u32 v3, v2, v8
	v_ashrrev_i32_e32 v5, 31, v0
	v_xor_b32_e32 v5, s39, v5
	s_mov_b32 s50, s10
	v_mul_lo_u32 v4, v3, s8
	v_add_u32_e32 v6, 1, v3
	v_sub_u32_e32 v2, v2, v4
	v_cmp_le_u32_e32 vcc, s8, v2
	v_subrev_u32_e32 v4, s8, v2
	v_cndmask_b32_e32 v3, v3, v6, vcc
	v_cndmask_b32_e32 v2, v2, v4, vcc
	v_add_u32_e32 v4, 1, v3
	v_cmp_le_u32_e32 vcc, s8, v2
	v_cndmask_b32_e32 v2, v3, v4, vcc
	v_xor_b32_e32 v2, v2, v5
	v_sub_u32_e32 v2, v2, v5
	v_sub_u32_e32 v3, 0, v2
	v_max_i32_e32 v3, v2, v3
	v_mul_hi_u32 v4, v3, v9
	v_ashrrev_i32_e32 v6, 31, v2
	v_xor_b32_e32 v6, s41, v6
	v_mul_lo_u32 v5, v4, s33
	v_add_u32_e32 v7, 1, v4
	v_sub_u32_e32 v3, v3, v5
	v_cmp_le_u32_e32 vcc, s33, v3
	v_subrev_u32_e32 v5, s33, v3
	v_cndmask_b32_e32 v4, v4, v7, vcc
	v_cndmask_b32_e32 v3, v3, v5, vcc
	v_add_u32_e32 v5, 1, v4
	v_cmp_le_u32_e32 vcc, s33, v3
	v_cndmask_b32_e32 v3, v4, v5, vcc
	v_xor_b32_e32 v3, v3, v6
	v_sub_u32_e32 v3, v3, v6
	v_sub_u32_e32 v4, 0, v3
	v_max_i32_e32 v4, v3, v4
	v_mul_hi_u32 v5, v4, v10
	v_ashrrev_i32_e32 v7, 31, v3
	v_xor_b32_e32 v7, s44, v7
	v_mul_lo_u32 v6, v5, s40
	v_add_u32_e32 v13, 1, v5
	v_sub_u32_e32 v4, v4, v6
	v_cmp_le_u32_e32 vcc, s40, v4
	v_cndmask_b32_e32 v5, v5, v13, vcc
	v_mul_lo_u32 v13, v3, s13
	v_subrev_u32_e32 v6, s40, v4
	v_cndmask_b32_e32 v4, v4, v6, vcc
	v_add_u32_e32 v6, 1, v5
	v_cmp_le_u32_e32 vcc, s40, v4
	v_cndmask_b32_e32 v4, v5, v6, vcc
	v_sub_u32_e32 v5, v2, v13
	v_add_u32_e32 v5, s23, v5
	v_sub_u32_e32 v6, 0, v5
	v_max_i32_e32 v6, v5, v6
	v_mul_hi_u32 v13, v6, v11
	v_mul_lo_u32 v2, v2, s12
	v_xor_b32_e32 v4, v4, v7
	v_sub_u32_e32 v4, v4, v7
	v_mul_lo_u32 v14, v13, s42
	v_sub_u32_e32 v2, v0, v2
	v_add_u32_e32 v15, s22, v2
	v_ashrrev_i32_e32 v2, 31, v5
	v_xor_b32_e32 v16, s45, v2
	v_sub_u32_e32 v2, v6, v14
	v_add_u32_e32 v6, 1, v13
	v_cmp_le_u32_e32 vcc, s42, v2
	v_cndmask_b32_e32 v6, v13, v6, vcc
	v_subrev_u32_e32 v13, s42, v2
	v_cndmask_b32_e32 v2, v2, v13, vcc
	v_add_u32_e32 v13, 1, v6
	v_cmp_le_u32_e32 vcc, s42, v2
	v_cndmask_b32_e32 v2, v6, v13, vcc
	v_sub_u32_e32 v13, 0, v15
	v_max_i32_e32 v13, v15, v13
	v_mul_lo_u32 v7, v4, s9
	v_mul_hi_u32 v14, v13, v12
	v_xor_b32_e32 v2, v2, v16
	v_sub_u32_e32 v6, v2, v16
	v_sub_u32_e32 v7, v3, v7
	v_mul_lo_u32 v3, v14, s43
	v_mul_lo_u32 v17, v6, s19
	;; [unrolled: 1-line block ×3, first 2 shown]
	v_sub_u32_e32 v3, v13, v3
	v_add_u32_e32 v13, 1, v14
	v_cmp_le_u32_e32 vcc, s43, v3
	v_cndmask_b32_e32 v13, v14, v13, vcc
	v_subrev_u32_e32 v14, s43, v3
	v_cndmask_b32_e32 v3, v3, v14, vcc
	v_sub_u32_e32 v5, v5, v17
	v_ashrrev_i32_e32 v17, 31, v15
	v_add_u32_e32 v14, 1, v13
	v_cmp_le_u32_e32 vcc, s43, v3
	v_xor_b32_e32 v17, s46, v17
	v_cndmask_b32_e32 v3, v13, v14, vcc
	v_xor_b32_e32 v3, v3, v17
	v_sub_u32_e32 v13, v3, v17
	v_mul_lo_u32 v14, v13, s18
	v_cmp_eq_u32_e32 vcc, 0, v5
	v_cmp_gt_i32_e64 s[6:7], s14, v13
	v_sub_u32_e32 v5, v15, v14
	v_cmp_eq_u32_e64 s[2:3], 0, v5
	v_mad_u64_u32 v[4:5], s[4:5], v7, s10, v[4:5]
	v_cmp_lt_i32_e64 s[4:5], -1, v6
	s_and_b64 s[30:31], s[2:3], s[4:5]
	v_mad_u64_u32 v[4:5], s[2:3], s15, v4, v[2:3]
	v_cmp_lt_i32_e64 s[4:5], -1, v13
	v_cmp_gt_i32_e64 s[2:3], s15, v6
	v_sub_u32_e32 v2, v4, v16
	v_mad_u64_u32 v[2:3], s[34:35], s14, v2, v[3:4]
	v_mul_lo_u32 v4, s48, v7
	s_and_b64 s[4:5], s[4:5], s[6:7]
	v_sub_u32_e32 v6, v2, v17
	v_mov_b32_e32 v2, 0
	s_and_b64 s[4:5], s[2:3], s[4:5]
	v_mov_b32_e32 v3, 0
	s_branch .LBB24_9
.LBB24_6:                               ;   in Loop: Header=BB24_9 Depth=2
	s_or_b64 exec, exec, s[36:37]
.LBB24_7:                               ;   in Loop: Header=BB24_9 Depth=2
	s_or_b64 exec, exec, s[34:35]
.LBB24_8:                               ;   in Loop: Header=BB24_9 Depth=2
	s_or_b64 exec, exec, s[6:7]
	s_add_i32 s50, s50, -1
	v_add_u32_e32 v4, s47, v4
	s_cmp_eq_u32 s50, 0
	v_add_u32_e32 v6, s49, v6
	s_cbranch_scc1 .LBB24_3
.LBB24_9:                               ;   Parent Loop BB24_4 Depth=1
                                        ; =>  This Inner Loop Header: Depth=2
	s_and_saveexec_b64 s[6:7], vcc
	s_cbranch_execz .LBB24_8
; %bb.10:                               ;   in Loop: Header=BB24_9 Depth=2
	s_and_saveexec_b64 s[34:35], s[30:31]
	s_cbranch_execz .LBB24_7
; %bb.11:                               ;   in Loop: Header=BB24_9 Depth=2
	s_and_saveexec_b64 s[36:37], s[4:5]
	s_cbranch_execz .LBB24_6
; %bb.12:                               ;   in Loop: Header=BB24_9 Depth=2
	v_ashrrev_i32_e32 v5, 31, v4
	v_lshlrev_b64 v[13:14], 3, v[4:5]
	v_ashrrev_i32_e32 v7, 31, v6
	s_waitcnt lgkmcnt(0)
	v_mov_b32_e32 v5, s29
	v_add_co_u32_e64 v13, s[2:3], s28, v13
	v_lshlrev_b64 v[15:16], 3, v[6:7]
	v_addc_co_u32_e64 v14, s[2:3], v5, v14, s[2:3]
	v_mov_b32_e32 v5, s25
	v_add_co_u32_e64 v15, s[2:3], s24, v15
	v_addc_co_u32_e64 v16, s[2:3], v5, v16, s[2:3]
	global_load_dwordx2 v[13:14], v[13:14], off
	s_nop 0
	global_load_dwordx2 v[15:16], v[15:16], off
	s_waitcnt vmcnt(0)
	v_fma_f64 v[2:3], v[13:14], v[15:16], v[2:3]
	s_branch .LBB24_6
.LBB24_13:
	s_endpgm
	.section	.rodata,"a",@progbits
	.p2align	6, 0x0
	.amdhsa_kernel _ZN2at6native12_GLOBAL__N_132conv_depthwise2d_backward_kernelILi1ELi0EdiEEvN5torch10headeronly6detail27GenericPackedTensorAccessorINS5_14TensorAccessorIN3c108ArrayRefIlEEKT1_Lm3ENS4_16DefaultPtrTraitsEiEENS_6detail16IndexBoundsCheckILm4EiEESC_Lm4ESD_iEENS6_INS7_ISA_SB_Lm3ESD_iEESH_SB_Lm4ESD_iEESI_T2_iiiiiiiiiiiiiii
		.amdhsa_group_segment_fixed_size 0
		.amdhsa_private_segment_fixed_size 0
		.amdhsa_kernarg_size 440
		.amdhsa_user_sgpr_count 6
		.amdhsa_user_sgpr_private_segment_buffer 1
		.amdhsa_user_sgpr_dispatch_ptr 0
		.amdhsa_user_sgpr_queue_ptr 0
		.amdhsa_user_sgpr_kernarg_segment_ptr 1
		.amdhsa_user_sgpr_dispatch_id 0
		.amdhsa_user_sgpr_flat_scratch_init 0
		.amdhsa_user_sgpr_private_segment_size 0
		.amdhsa_uses_dynamic_stack 0
		.amdhsa_system_sgpr_private_segment_wavefront_offset 0
		.amdhsa_system_sgpr_workgroup_id_x 1
		.amdhsa_system_sgpr_workgroup_id_y 0
		.amdhsa_system_sgpr_workgroup_id_z 0
		.amdhsa_system_sgpr_workgroup_info 0
		.amdhsa_system_vgpr_workitem_id 0
		.amdhsa_next_free_vgpr 18
		.amdhsa_next_free_sgpr 51
		.amdhsa_reserve_vcc 1
		.amdhsa_reserve_flat_scratch 0
		.amdhsa_float_round_mode_32 0
		.amdhsa_float_round_mode_16_64 0
		.amdhsa_float_denorm_mode_32 3
		.amdhsa_float_denorm_mode_16_64 3
		.amdhsa_dx10_clamp 1
		.amdhsa_ieee_mode 1
		.amdhsa_fp16_overflow 0
		.amdhsa_exception_fp_ieee_invalid_op 0
		.amdhsa_exception_fp_denorm_src 0
		.amdhsa_exception_fp_ieee_div_zero 0
		.amdhsa_exception_fp_ieee_overflow 0
		.amdhsa_exception_fp_ieee_underflow 0
		.amdhsa_exception_fp_ieee_inexact 0
		.amdhsa_exception_int_div_zero 0
	.end_amdhsa_kernel
	.section	.text._ZN2at6native12_GLOBAL__N_132conv_depthwise2d_backward_kernelILi1ELi0EdiEEvN5torch10headeronly6detail27GenericPackedTensorAccessorINS5_14TensorAccessorIN3c108ArrayRefIlEEKT1_Lm3ENS4_16DefaultPtrTraitsEiEENS_6detail16IndexBoundsCheckILm4EiEESC_Lm4ESD_iEENS6_INS7_ISA_SB_Lm3ESD_iEESH_SB_Lm4ESD_iEESI_T2_iiiiiiiiiiiiiii,"axG",@progbits,_ZN2at6native12_GLOBAL__N_132conv_depthwise2d_backward_kernelILi1ELi0EdiEEvN5torch10headeronly6detail27GenericPackedTensorAccessorINS5_14TensorAccessorIN3c108ArrayRefIlEEKT1_Lm3ENS4_16DefaultPtrTraitsEiEENS_6detail16IndexBoundsCheckILm4EiEESC_Lm4ESD_iEENS6_INS7_ISA_SB_Lm3ESD_iEESH_SB_Lm4ESD_iEESI_T2_iiiiiiiiiiiiiii,comdat
.Lfunc_end24:
	.size	_ZN2at6native12_GLOBAL__N_132conv_depthwise2d_backward_kernelILi1ELi0EdiEEvN5torch10headeronly6detail27GenericPackedTensorAccessorINS5_14TensorAccessorIN3c108ArrayRefIlEEKT1_Lm3ENS4_16DefaultPtrTraitsEiEENS_6detail16IndexBoundsCheckILm4EiEESC_Lm4ESD_iEENS6_INS7_ISA_SB_Lm3ESD_iEESH_SB_Lm4ESD_iEESI_T2_iiiiiiiiiiiiiii, .Lfunc_end24-_ZN2at6native12_GLOBAL__N_132conv_depthwise2d_backward_kernelILi1ELi0EdiEEvN5torch10headeronly6detail27GenericPackedTensorAccessorINS5_14TensorAccessorIN3c108ArrayRefIlEEKT1_Lm3ENS4_16DefaultPtrTraitsEiEENS_6detail16IndexBoundsCheckILm4EiEESC_Lm4ESD_iEENS6_INS7_ISA_SB_Lm3ESD_iEESH_SB_Lm4ESD_iEESI_T2_iiiiiiiiiiiiiii
                                        ; -- End function
	.set _ZN2at6native12_GLOBAL__N_132conv_depthwise2d_backward_kernelILi1ELi0EdiEEvN5torch10headeronly6detail27GenericPackedTensorAccessorINS5_14TensorAccessorIN3c108ArrayRefIlEEKT1_Lm3ENS4_16DefaultPtrTraitsEiEENS_6detail16IndexBoundsCheckILm4EiEESC_Lm4ESD_iEENS6_INS7_ISA_SB_Lm3ESD_iEESH_SB_Lm4ESD_iEESI_T2_iiiiiiiiiiiiiii.num_vgpr, 18
	.set _ZN2at6native12_GLOBAL__N_132conv_depthwise2d_backward_kernelILi1ELi0EdiEEvN5torch10headeronly6detail27GenericPackedTensorAccessorINS5_14TensorAccessorIN3c108ArrayRefIlEEKT1_Lm3ENS4_16DefaultPtrTraitsEiEENS_6detail16IndexBoundsCheckILm4EiEESC_Lm4ESD_iEENS6_INS7_ISA_SB_Lm3ESD_iEESH_SB_Lm4ESD_iEESI_T2_iiiiiiiiiiiiiii.num_agpr, 0
	.set _ZN2at6native12_GLOBAL__N_132conv_depthwise2d_backward_kernelILi1ELi0EdiEEvN5torch10headeronly6detail27GenericPackedTensorAccessorINS5_14TensorAccessorIN3c108ArrayRefIlEEKT1_Lm3ENS4_16DefaultPtrTraitsEiEENS_6detail16IndexBoundsCheckILm4EiEESC_Lm4ESD_iEENS6_INS7_ISA_SB_Lm3ESD_iEESH_SB_Lm4ESD_iEESI_T2_iiiiiiiiiiiiiii.numbered_sgpr, 51
	.set _ZN2at6native12_GLOBAL__N_132conv_depthwise2d_backward_kernelILi1ELi0EdiEEvN5torch10headeronly6detail27GenericPackedTensorAccessorINS5_14TensorAccessorIN3c108ArrayRefIlEEKT1_Lm3ENS4_16DefaultPtrTraitsEiEENS_6detail16IndexBoundsCheckILm4EiEESC_Lm4ESD_iEENS6_INS7_ISA_SB_Lm3ESD_iEESH_SB_Lm4ESD_iEESI_T2_iiiiiiiiiiiiiii.num_named_barrier, 0
	.set _ZN2at6native12_GLOBAL__N_132conv_depthwise2d_backward_kernelILi1ELi0EdiEEvN5torch10headeronly6detail27GenericPackedTensorAccessorINS5_14TensorAccessorIN3c108ArrayRefIlEEKT1_Lm3ENS4_16DefaultPtrTraitsEiEENS_6detail16IndexBoundsCheckILm4EiEESC_Lm4ESD_iEENS6_INS7_ISA_SB_Lm3ESD_iEESH_SB_Lm4ESD_iEESI_T2_iiiiiiiiiiiiiii.private_seg_size, 0
	.set _ZN2at6native12_GLOBAL__N_132conv_depthwise2d_backward_kernelILi1ELi0EdiEEvN5torch10headeronly6detail27GenericPackedTensorAccessorINS5_14TensorAccessorIN3c108ArrayRefIlEEKT1_Lm3ENS4_16DefaultPtrTraitsEiEENS_6detail16IndexBoundsCheckILm4EiEESC_Lm4ESD_iEENS6_INS7_ISA_SB_Lm3ESD_iEESH_SB_Lm4ESD_iEESI_T2_iiiiiiiiiiiiiii.uses_vcc, 1
	.set _ZN2at6native12_GLOBAL__N_132conv_depthwise2d_backward_kernelILi1ELi0EdiEEvN5torch10headeronly6detail27GenericPackedTensorAccessorINS5_14TensorAccessorIN3c108ArrayRefIlEEKT1_Lm3ENS4_16DefaultPtrTraitsEiEENS_6detail16IndexBoundsCheckILm4EiEESC_Lm4ESD_iEENS6_INS7_ISA_SB_Lm3ESD_iEESH_SB_Lm4ESD_iEESI_T2_iiiiiiiiiiiiiii.uses_flat_scratch, 0
	.set _ZN2at6native12_GLOBAL__N_132conv_depthwise2d_backward_kernelILi1ELi0EdiEEvN5torch10headeronly6detail27GenericPackedTensorAccessorINS5_14TensorAccessorIN3c108ArrayRefIlEEKT1_Lm3ENS4_16DefaultPtrTraitsEiEENS_6detail16IndexBoundsCheckILm4EiEESC_Lm4ESD_iEENS6_INS7_ISA_SB_Lm3ESD_iEESH_SB_Lm4ESD_iEESI_T2_iiiiiiiiiiiiiii.has_dyn_sized_stack, 0
	.set _ZN2at6native12_GLOBAL__N_132conv_depthwise2d_backward_kernelILi1ELi0EdiEEvN5torch10headeronly6detail27GenericPackedTensorAccessorINS5_14TensorAccessorIN3c108ArrayRefIlEEKT1_Lm3ENS4_16DefaultPtrTraitsEiEENS_6detail16IndexBoundsCheckILm4EiEESC_Lm4ESD_iEENS6_INS7_ISA_SB_Lm3ESD_iEESH_SB_Lm4ESD_iEESI_T2_iiiiiiiiiiiiiii.has_recursion, 0
	.set _ZN2at6native12_GLOBAL__N_132conv_depthwise2d_backward_kernelILi1ELi0EdiEEvN5torch10headeronly6detail27GenericPackedTensorAccessorINS5_14TensorAccessorIN3c108ArrayRefIlEEKT1_Lm3ENS4_16DefaultPtrTraitsEiEENS_6detail16IndexBoundsCheckILm4EiEESC_Lm4ESD_iEENS6_INS7_ISA_SB_Lm3ESD_iEESH_SB_Lm4ESD_iEESI_T2_iiiiiiiiiiiiiii.has_indirect_call, 0
	.section	.AMDGPU.csdata,"",@progbits
; Kernel info:
; codeLenInByte = 1248
; TotalNumSgprs: 55
; NumVgprs: 18
; ScratchSize: 0
; MemoryBound: 0
; FloatMode: 240
; IeeeMode: 1
; LDSByteSize: 0 bytes/workgroup (compile time only)
; SGPRBlocks: 6
; VGPRBlocks: 4
; NumSGPRsForWavesPerEU: 55
; NumVGPRsForWavesPerEU: 18
; Occupancy: 10
; WaveLimiterHint : 0
; COMPUTE_PGM_RSRC2:SCRATCH_EN: 0
; COMPUTE_PGM_RSRC2:USER_SGPR: 6
; COMPUTE_PGM_RSRC2:TRAP_HANDLER: 0
; COMPUTE_PGM_RSRC2:TGID_X_EN: 1
; COMPUTE_PGM_RSRC2:TGID_Y_EN: 0
; COMPUTE_PGM_RSRC2:TGID_Z_EN: 0
; COMPUTE_PGM_RSRC2:TIDIG_COMP_CNT: 0
	.section	.text._ZN2at6native12_GLOBAL__N_132conv_depthwise2d_backward_kernelILi0ELi1EdiEEvN5torch10headeronly6detail27GenericPackedTensorAccessorINS5_14TensorAccessorIN3c108ArrayRefIlEEKT1_Lm3ENS4_16DefaultPtrTraitsEiEENS_6detail16IndexBoundsCheckILm4EiEESC_Lm4ESD_iEENS6_INS7_ISA_SB_Lm3ESD_iEESH_SB_Lm4ESD_iEESI_T2_iiiiiiiiiiiiiii,"axG",@progbits,_ZN2at6native12_GLOBAL__N_132conv_depthwise2d_backward_kernelILi0ELi1EdiEEvN5torch10headeronly6detail27GenericPackedTensorAccessorINS5_14TensorAccessorIN3c108ArrayRefIlEEKT1_Lm3ENS4_16DefaultPtrTraitsEiEENS_6detail16IndexBoundsCheckILm4EiEESC_Lm4ESD_iEENS6_INS7_ISA_SB_Lm3ESD_iEESH_SB_Lm4ESD_iEESI_T2_iiiiiiiiiiiiiii,comdat
	.globl	_ZN2at6native12_GLOBAL__N_132conv_depthwise2d_backward_kernelILi0ELi1EdiEEvN5torch10headeronly6detail27GenericPackedTensorAccessorINS5_14TensorAccessorIN3c108ArrayRefIlEEKT1_Lm3ENS4_16DefaultPtrTraitsEiEENS_6detail16IndexBoundsCheckILm4EiEESC_Lm4ESD_iEENS6_INS7_ISA_SB_Lm3ESD_iEESH_SB_Lm4ESD_iEESI_T2_iiiiiiiiiiiiiii ; -- Begin function _ZN2at6native12_GLOBAL__N_132conv_depthwise2d_backward_kernelILi0ELi1EdiEEvN5torch10headeronly6detail27GenericPackedTensorAccessorINS5_14TensorAccessorIN3c108ArrayRefIlEEKT1_Lm3ENS4_16DefaultPtrTraitsEiEENS_6detail16IndexBoundsCheckILm4EiEESC_Lm4ESD_iEENS6_INS7_ISA_SB_Lm3ESD_iEESH_SB_Lm4ESD_iEESI_T2_iiiiiiiiiiiiiii
	.p2align	8
	.type	_ZN2at6native12_GLOBAL__N_132conv_depthwise2d_backward_kernelILi0ELi1EdiEEvN5torch10headeronly6detail27GenericPackedTensorAccessorINS5_14TensorAccessorIN3c108ArrayRefIlEEKT1_Lm3ENS4_16DefaultPtrTraitsEiEENS_6detail16IndexBoundsCheckILm4EiEESC_Lm4ESD_iEENS6_INS7_ISA_SB_Lm3ESD_iEESH_SB_Lm4ESD_iEESI_T2_iiiiiiiiiiiiiii,@function
_ZN2at6native12_GLOBAL__N_132conv_depthwise2d_backward_kernelILi0ELi1EdiEEvN5torch10headeronly6detail27GenericPackedTensorAccessorINS5_14TensorAccessorIN3c108ArrayRefIlEEKT1_Lm3ENS4_16DefaultPtrTraitsEiEENS_6detail16IndexBoundsCheckILm4EiEESC_Lm4ESD_iEENS6_INS7_ISA_SB_Lm3ESD_iEESH_SB_Lm4ESD_iEESI_T2_iiiiiiiiiiiiiii: ; @_ZN2at6native12_GLOBAL__N_132conv_depthwise2d_backward_kernelILi0ELi1EdiEEvN5torch10headeronly6detail27GenericPackedTensorAccessorINS5_14TensorAccessorIN3c108ArrayRefIlEEKT1_Lm3ENS4_16DefaultPtrTraitsEiEENS_6detail16IndexBoundsCheckILm4EiEESC_Lm4ESD_iEENS6_INS7_ISA_SB_Lm3ESD_iEESH_SB_Lm4ESD_iEESI_T2_iiiiiiiiiiiiiii
; %bb.0:
	s_load_dword s2, s[4:5], 0xc4
	s_load_dwordx8 s[8:15], s[4:5], 0x78
	s_add_u32 s0, s4, 0xb8
	s_addc_u32 s1, s5, 0
	v_mov_b32_e32 v1, 0
	s_waitcnt lgkmcnt(0)
	s_and_b32 s2, s2, 0xffff
	v_mov_b32_e32 v2, s6
	v_mad_u64_u32 v[1:2], s[16:17], s2, v2, v[0:1]
	s_ashr_i32 s21, s8, 31
	s_mov_b32 s20, s8
	v_cmp_gt_i64_e32 vcc, s[20:21], v[1:2]
	s_and_saveexec_b64 s[16:17], vcc
	s_cbranch_execz .LBB25_17
; %bb.1:
	s_load_dwordx2 s[22:23], s[4:5], 0x98
	s_load_dwordx2 s[24:25], s[4:5], 0x50
	s_cmp_gt_i32 s10, 0
	s_cselect_b64 s[38:39], -1, 0
	s_load_dwordx2 s[30:31], s[4:5], 0x0
	s_load_dwordx2 s[34:35], s[4:5], 0x28
	s_waitcnt lgkmcnt(0)
	s_cmp_gt_i32 s23, 0
	s_cselect_b64 s[26:27], -1, 0
	s_cmp_gt_i32 s22, 0
	s_cselect_b64 s[28:29], -1, 0
	s_abs_i32 s8, s12
	v_cvt_f32_u32_e32 v3, s8
	s_abs_i32 s33, s13
	v_cvt_f32_u32_e32 v4, s33
	s_abs_i32 s40, s9
	v_rcp_iflag_f32_e32 v3, v3
	v_cvt_f32_u32_e32 v5, s40
	v_rcp_iflag_f32_e32 v4, v4
	s_load_dwordx4 s[16:19], s[4:5], 0xa8
	s_load_dword s3, s[0:1], 0x0
	v_mul_f32_e32 v3, 0x4f7ffffe, v3
	v_rcp_iflag_f32_e32 v5, v5
	v_cvt_u32_f32_e32 v3, v3
	v_mul_f32_e32 v4, 0x4f7ffffe, v4
	s_sub_i32 s0, 0, s8
	v_cvt_u32_f32_e32 v4, v4
	v_mul_f32_e32 v5, 0x4f7ffffe, v5
	v_mul_lo_u32 v6, s0, v3
	v_cvt_u32_f32_e32 v5, v5
	s_sub_i32 s0, 0, s33
	v_mul_lo_u32 v7, s0, v4
	s_sub_i32 s0, 0, s40
	v_mul_hi_u32 v6, v3, v6
	v_mul_lo_u32 v9, s0, v5
	v_mul_hi_u32 v7, v4, v7
	s_mul_i32 s0, s6, s2
	v_add_u32_e32 v8, v3, v6
	v_mul_hi_u32 v3, v5, v9
	s_waitcnt lgkmcnt(0)
	s_add_i32 s0, s0, s16
	s_mul_i32 s16, s23, s22
	s_mul_i32 s41, s3, s2
	v_add_u32_e32 v10, v5, v3
	v_cndmask_b32_e64 v3, 0, 1, s[38:39]
	s_ashr_i32 s42, s12, 31
	s_ashr_i32 s43, s13, 31
	v_add_u32_e32 v9, v4, v7
	s_ashr_i32 s44, s9, 31
	s_mul_i32 s45, s15, s14
	s_mul_i32 s46, s19, s14
	v_add_u32_e32 v0, s0, v0
	s_mul_i32 s47, s16, s10
	s_max_i32 s48, s22, 0
	s_mov_b64 s[36:37], 0
	v_cmp_ne_u32_e64 s[0:1], 1, v3
	s_branch .LBB25_4
.LBB25_2:                               ;   in Loop: Header=BB25_4 Depth=1
	v_mov_b32_e32 v3, 0
	v_mov_b32_e32 v4, 0
.LBB25_3:                               ;   in Loop: Header=BB25_4 Depth=1
	v_lshlrev_b64 v[5:6], 3, v[1:2]
	v_mov_b32_e32 v7, s35
	v_add_co_u32_e32 v5, vcc, s34, v5
	v_addc_co_u32_e32 v6, vcc, v7, v6, vcc
	v_add_co_u32_e32 v1, vcc, s41, v1
	v_addc_co_u32_e32 v2, vcc, 0, v2, vcc
	v_cmp_le_i64_e32 vcc, s[20:21], v[1:2]
	v_add_u32_e32 v0, s41, v0
	s_or_b64 s[36:37], vcc, s[36:37]
	global_store_dwordx2 v[5:6], v[3:4], off
	s_andn2_b64 exec, exec, s[36:37]
	s_cbranch_execz .LBB25_17
.LBB25_4:                               ; =>This Loop Header: Depth=1
                                        ;     Child Loop BB25_7 Depth 2
                                        ;       Child Loop BB25_10 Depth 3
                                        ;         Child Loop BB25_14 Depth 4
	s_and_b64 vcc, exec, s[0:1]
	s_cbranch_vccnz .LBB25_2
; %bb.5:                                ;   in Loop: Header=BB25_4 Depth=1
	v_sub_u32_e32 v3, 0, v1
	v_max_i32_e32 v3, v1, v3
	v_mul_hi_u32 v4, v3, v8
	v_ashrrev_i32_e32 v6, 31, v1
	v_xor_b32_e32 v6, s42, v6
	s_mov_b32 s49, 0
	v_mul_lo_u32 v5, v4, s8
	v_add_u32_e32 v7, 1, v4
	v_sub_u32_e32 v3, v3, v5
	v_cmp_le_u32_e32 vcc, s8, v3
	v_subrev_u32_e32 v5, s8, v3
	v_cndmask_b32_e32 v4, v4, v7, vcc
	v_cndmask_b32_e32 v3, v3, v5, vcc
	v_add_u32_e32 v5, 1, v4
	v_cmp_le_u32_e32 vcc, s8, v3
	v_cndmask_b32_e32 v3, v4, v5, vcc
	v_xor_b32_e32 v5, v3, v6
	v_sub_u32_e32 v7, v5, v6
	v_sub_u32_e32 v3, 0, v7
	v_max_i32_e32 v3, v7, v3
	v_mul_hi_u32 v4, v3, v9
	v_ashrrev_i32_e32 v12, 31, v7
	v_xor_b32_e32 v12, s43, v12
	v_mul_lo_u32 v15, s12, v7
	v_mul_lo_u32 v11, v4, s33
	v_add_u32_e32 v13, 1, v4
	v_sub_u32_e32 v15, v0, v15
	v_sub_u32_e32 v3, v3, v11
	v_cmp_le_u32_e32 vcc, s33, v3
	v_subrev_u32_e32 v11, s33, v3
	v_cndmask_b32_e32 v4, v4, v13, vcc
	v_cndmask_b32_e32 v3, v3, v11, vcc
	v_add_u32_e32 v11, 1, v4
	v_cmp_le_u32_e32 vcc, s33, v3
	v_cndmask_b32_e32 v3, v4, v11, vcc
	v_xor_b32_e32 v3, v3, v12
	v_sub_u32_e32 v11, v3, v12
	v_sub_u32_e32 v3, 0, v11
	v_max_i32_e32 v3, v11, v3
	v_mul_hi_u32 v4, v3, v10
	v_ashrrev_i32_e32 v13, 31, v11
	v_xor_b32_e32 v13, s44, v13
	v_mul_lo_u32 v12, v4, s40
	v_add_u32_e32 v14, 1, v4
	v_sub_u32_e32 v3, v3, v12
	v_cmp_le_u32_e32 vcc, s40, v3
	v_subrev_u32_e32 v12, s40, v3
	v_cndmask_b32_e32 v4, v4, v14, vcc
	v_cndmask_b32_e32 v3, v3, v12, vcc
	v_add_u32_e32 v12, 1, v4
	v_cmp_le_u32_e32 vcc, s40, v3
	v_cndmask_b32_e32 v3, v4, v12, vcc
	v_xor_b32_e32 v3, v3, v13
	v_sub_u32_e32 v3, v3, v13
	v_mul_lo_u32 v4, v3, s9
	v_mul_lo_u32 v3, v3, s11
	v_add_u32_e32 v14, s17, v7
	v_sub_u32_e32 v13, v11, v4
	v_mad_u64_u32 v[3:4], s[2:3], v13, s10, v[3:4]
	v_mul_lo_u32 v11, s13, v11
	v_mul_lo_u32 v13, s47, v13
	;; [unrolled: 1-line block ×3, first 2 shown]
	v_add3_u32 v3, s17, v5, v3
	v_sub_u32_e32 v3, v3, v11
	v_sub_u32_e32 v3, v3, v6
	v_mul_lo_u32 v12, s14, v3
	v_mov_b32_e32 v3, 0
	v_mov_b32_e32 v4, 0
	s_branch .LBB25_7
.LBB25_6:                               ;   in Loop: Header=BB25_7 Depth=2
	s_add_i32 s49, s49, 1
	v_add_u32_e32 v12, s45, v12
	s_cmp_eq_u32 s49, s10
	v_add_u32_e32 v13, s16, v13
	s_cbranch_scc1 .LBB25_3
.LBB25_7:                               ;   Parent Loop BB25_4 Depth=1
                                        ; =>  This Loop Header: Depth=2
                                        ;       Child Loop BB25_10 Depth 3
                                        ;         Child Loop BB25_14 Depth 4
	s_andn2_b64 vcc, exec, s[26:27]
	s_cbranch_vccnz .LBB25_6
; %bb.8:                                ;   in Loop: Header=BB25_7 Depth=2
	s_mov_b32 s50, 0
	v_mov_b32_e32 v5, v13
	v_mov_b32_e32 v16, v12
	s_branch .LBB25_10
.LBB25_9:                               ;   in Loop: Header=BB25_10 Depth=3
	s_add_i32 s50, s50, 1
	v_subrev_u32_e32 v16, s46, v16
	s_cmp_eq_u32 s50, s23
	v_add_u32_e32 v5, s48, v5
	s_cbranch_scc1 .LBB25_6
.LBB25_10:                              ;   Parent Loop BB25_4 Depth=1
                                        ;     Parent Loop BB25_7 Depth=2
                                        ; =>    This Loop Header: Depth=3
                                        ;         Child Loop BB25_14 Depth 4
	s_andn2_b64 vcc, exec, s[28:29]
	s_cbranch_vccnz .LBB25_9
; %bb.11:                               ;   in Loop: Header=BB25_10 Depth=3
	v_ashrrev_i32_e32 v6, 31, v5
	v_lshlrev_b64 v[6:7], 3, v[5:6]
	v_mov_b32_e32 v17, s25
	v_add_co_u32_e32 v6, vcc, s24, v6
	s_mul_i32 s2, s19, s50
	v_addc_co_u32_e32 v7, vcc, v17, v7, vcc
	v_add_u32_e32 v17, s2, v11
	v_sub_u32_e32 v17, v14, v17
	v_cmp_lt_i32_e32 vcc, -1, v17
	v_cmp_gt_i32_e64 s[2:3], s15, v17
	s_mov_b32 s51, s22
	v_mov_b32_e32 v17, v15
	s_branch .LBB25_14
.LBB25_12:                              ;   in Loop: Header=BB25_14 Depth=4
	s_or_b64 exec, exec, s[6:7]
.LBB25_13:                              ;   in Loop: Header=BB25_14 Depth=4
	s_or_b64 exec, exec, s[38:39]
	s_add_i32 s51, s51, -1
	v_add_co_u32_e64 v6, s[4:5], 8, v6
	v_subrev_u32_e32 v17, s18, v17
	s_cmp_eq_u32 s51, 0
	v_addc_co_u32_e64 v7, s[4:5], 0, v7, s[4:5]
	s_cbranch_scc1 .LBB25_9
.LBB25_14:                              ;   Parent Loop BB25_4 Depth=1
                                        ;     Parent Loop BB25_7 Depth=2
                                        ;       Parent Loop BB25_10 Depth=3
                                        ; =>      This Inner Loop Header: Depth=4
	s_and_saveexec_b64 s[38:39], vcc
	s_cbranch_execz .LBB25_13
; %bb.15:                               ;   in Loop: Header=BB25_14 Depth=4
	v_cmp_lt_i32_e64 s[4:5], -1, v17
	v_cmp_gt_i32_e64 s[6:7], s14, v17
	s_and_b64 s[4:5], s[4:5], s[6:7]
	s_and_b64 s[4:5], s[2:3], s[4:5]
	s_and_saveexec_b64 s[6:7], s[4:5]
	s_cbranch_execz .LBB25_12
; %bb.16:                               ;   in Loop: Header=BB25_14 Depth=4
	v_add_u32_e32 v18, v16, v17
	v_ashrrev_i32_e32 v19, 31, v18
	v_lshlrev_b64 v[18:19], 3, v[18:19]
	v_mov_b32_e32 v22, s31
	v_add_co_u32_e64 v18, s[4:5], s30, v18
	v_addc_co_u32_e64 v19, s[4:5], v22, v19, s[4:5]
	global_load_dwordx2 v[20:21], v[6:7], off
	s_nop 0
	global_load_dwordx2 v[18:19], v[18:19], off
	s_waitcnt vmcnt(0)
	v_fma_f64 v[3:4], v[20:21], v[18:19], v[3:4]
	s_branch .LBB25_12
.LBB25_17:
	s_endpgm
	.section	.rodata,"a",@progbits
	.p2align	6, 0x0
	.amdhsa_kernel _ZN2at6native12_GLOBAL__N_132conv_depthwise2d_backward_kernelILi0ELi1EdiEEvN5torch10headeronly6detail27GenericPackedTensorAccessorINS5_14TensorAccessorIN3c108ArrayRefIlEEKT1_Lm3ENS4_16DefaultPtrTraitsEiEENS_6detail16IndexBoundsCheckILm4EiEESC_Lm4ESD_iEENS6_INS7_ISA_SB_Lm3ESD_iEESH_SB_Lm4ESD_iEESI_T2_iiiiiiiiiiiiiii
		.amdhsa_group_segment_fixed_size 0
		.amdhsa_private_segment_fixed_size 0
		.amdhsa_kernarg_size 440
		.amdhsa_user_sgpr_count 6
		.amdhsa_user_sgpr_private_segment_buffer 1
		.amdhsa_user_sgpr_dispatch_ptr 0
		.amdhsa_user_sgpr_queue_ptr 0
		.amdhsa_user_sgpr_kernarg_segment_ptr 1
		.amdhsa_user_sgpr_dispatch_id 0
		.amdhsa_user_sgpr_flat_scratch_init 0
		.amdhsa_user_sgpr_private_segment_size 0
		.amdhsa_uses_dynamic_stack 0
		.amdhsa_system_sgpr_private_segment_wavefront_offset 0
		.amdhsa_system_sgpr_workgroup_id_x 1
		.amdhsa_system_sgpr_workgroup_id_y 0
		.amdhsa_system_sgpr_workgroup_id_z 0
		.amdhsa_system_sgpr_workgroup_info 0
		.amdhsa_system_vgpr_workitem_id 0
		.amdhsa_next_free_vgpr 23
		.amdhsa_next_free_sgpr 52
		.amdhsa_reserve_vcc 1
		.amdhsa_reserve_flat_scratch 0
		.amdhsa_float_round_mode_32 0
		.amdhsa_float_round_mode_16_64 0
		.amdhsa_float_denorm_mode_32 3
		.amdhsa_float_denorm_mode_16_64 3
		.amdhsa_dx10_clamp 1
		.amdhsa_ieee_mode 1
		.amdhsa_fp16_overflow 0
		.amdhsa_exception_fp_ieee_invalid_op 0
		.amdhsa_exception_fp_denorm_src 0
		.amdhsa_exception_fp_ieee_div_zero 0
		.amdhsa_exception_fp_ieee_overflow 0
		.amdhsa_exception_fp_ieee_underflow 0
		.amdhsa_exception_fp_ieee_inexact 0
		.amdhsa_exception_int_div_zero 0
	.end_amdhsa_kernel
	.section	.text._ZN2at6native12_GLOBAL__N_132conv_depthwise2d_backward_kernelILi0ELi1EdiEEvN5torch10headeronly6detail27GenericPackedTensorAccessorINS5_14TensorAccessorIN3c108ArrayRefIlEEKT1_Lm3ENS4_16DefaultPtrTraitsEiEENS_6detail16IndexBoundsCheckILm4EiEESC_Lm4ESD_iEENS6_INS7_ISA_SB_Lm3ESD_iEESH_SB_Lm4ESD_iEESI_T2_iiiiiiiiiiiiiii,"axG",@progbits,_ZN2at6native12_GLOBAL__N_132conv_depthwise2d_backward_kernelILi0ELi1EdiEEvN5torch10headeronly6detail27GenericPackedTensorAccessorINS5_14TensorAccessorIN3c108ArrayRefIlEEKT1_Lm3ENS4_16DefaultPtrTraitsEiEENS_6detail16IndexBoundsCheckILm4EiEESC_Lm4ESD_iEENS6_INS7_ISA_SB_Lm3ESD_iEESH_SB_Lm4ESD_iEESI_T2_iiiiiiiiiiiiiii,comdat
.Lfunc_end25:
	.size	_ZN2at6native12_GLOBAL__N_132conv_depthwise2d_backward_kernelILi0ELi1EdiEEvN5torch10headeronly6detail27GenericPackedTensorAccessorINS5_14TensorAccessorIN3c108ArrayRefIlEEKT1_Lm3ENS4_16DefaultPtrTraitsEiEENS_6detail16IndexBoundsCheckILm4EiEESC_Lm4ESD_iEENS6_INS7_ISA_SB_Lm3ESD_iEESH_SB_Lm4ESD_iEESI_T2_iiiiiiiiiiiiiii, .Lfunc_end25-_ZN2at6native12_GLOBAL__N_132conv_depthwise2d_backward_kernelILi0ELi1EdiEEvN5torch10headeronly6detail27GenericPackedTensorAccessorINS5_14TensorAccessorIN3c108ArrayRefIlEEKT1_Lm3ENS4_16DefaultPtrTraitsEiEENS_6detail16IndexBoundsCheckILm4EiEESC_Lm4ESD_iEENS6_INS7_ISA_SB_Lm3ESD_iEESH_SB_Lm4ESD_iEESI_T2_iiiiiiiiiiiiiii
                                        ; -- End function
	.set _ZN2at6native12_GLOBAL__N_132conv_depthwise2d_backward_kernelILi0ELi1EdiEEvN5torch10headeronly6detail27GenericPackedTensorAccessorINS5_14TensorAccessorIN3c108ArrayRefIlEEKT1_Lm3ENS4_16DefaultPtrTraitsEiEENS_6detail16IndexBoundsCheckILm4EiEESC_Lm4ESD_iEENS6_INS7_ISA_SB_Lm3ESD_iEESH_SB_Lm4ESD_iEESI_T2_iiiiiiiiiiiiiii.num_vgpr, 23
	.set _ZN2at6native12_GLOBAL__N_132conv_depthwise2d_backward_kernelILi0ELi1EdiEEvN5torch10headeronly6detail27GenericPackedTensorAccessorINS5_14TensorAccessorIN3c108ArrayRefIlEEKT1_Lm3ENS4_16DefaultPtrTraitsEiEENS_6detail16IndexBoundsCheckILm4EiEESC_Lm4ESD_iEENS6_INS7_ISA_SB_Lm3ESD_iEESH_SB_Lm4ESD_iEESI_T2_iiiiiiiiiiiiiii.num_agpr, 0
	.set _ZN2at6native12_GLOBAL__N_132conv_depthwise2d_backward_kernelILi0ELi1EdiEEvN5torch10headeronly6detail27GenericPackedTensorAccessorINS5_14TensorAccessorIN3c108ArrayRefIlEEKT1_Lm3ENS4_16DefaultPtrTraitsEiEENS_6detail16IndexBoundsCheckILm4EiEESC_Lm4ESD_iEENS6_INS7_ISA_SB_Lm3ESD_iEESH_SB_Lm4ESD_iEESI_T2_iiiiiiiiiiiiiii.numbered_sgpr, 52
	.set _ZN2at6native12_GLOBAL__N_132conv_depthwise2d_backward_kernelILi0ELi1EdiEEvN5torch10headeronly6detail27GenericPackedTensorAccessorINS5_14TensorAccessorIN3c108ArrayRefIlEEKT1_Lm3ENS4_16DefaultPtrTraitsEiEENS_6detail16IndexBoundsCheckILm4EiEESC_Lm4ESD_iEENS6_INS7_ISA_SB_Lm3ESD_iEESH_SB_Lm4ESD_iEESI_T2_iiiiiiiiiiiiiii.num_named_barrier, 0
	.set _ZN2at6native12_GLOBAL__N_132conv_depthwise2d_backward_kernelILi0ELi1EdiEEvN5torch10headeronly6detail27GenericPackedTensorAccessorINS5_14TensorAccessorIN3c108ArrayRefIlEEKT1_Lm3ENS4_16DefaultPtrTraitsEiEENS_6detail16IndexBoundsCheckILm4EiEESC_Lm4ESD_iEENS6_INS7_ISA_SB_Lm3ESD_iEESH_SB_Lm4ESD_iEESI_T2_iiiiiiiiiiiiiii.private_seg_size, 0
	.set _ZN2at6native12_GLOBAL__N_132conv_depthwise2d_backward_kernelILi0ELi1EdiEEvN5torch10headeronly6detail27GenericPackedTensorAccessorINS5_14TensorAccessorIN3c108ArrayRefIlEEKT1_Lm3ENS4_16DefaultPtrTraitsEiEENS_6detail16IndexBoundsCheckILm4EiEESC_Lm4ESD_iEENS6_INS7_ISA_SB_Lm3ESD_iEESH_SB_Lm4ESD_iEESI_T2_iiiiiiiiiiiiiii.uses_vcc, 1
	.set _ZN2at6native12_GLOBAL__N_132conv_depthwise2d_backward_kernelILi0ELi1EdiEEvN5torch10headeronly6detail27GenericPackedTensorAccessorINS5_14TensorAccessorIN3c108ArrayRefIlEEKT1_Lm3ENS4_16DefaultPtrTraitsEiEENS_6detail16IndexBoundsCheckILm4EiEESC_Lm4ESD_iEENS6_INS7_ISA_SB_Lm3ESD_iEESH_SB_Lm4ESD_iEESI_T2_iiiiiiiiiiiiiii.uses_flat_scratch, 0
	.set _ZN2at6native12_GLOBAL__N_132conv_depthwise2d_backward_kernelILi0ELi1EdiEEvN5torch10headeronly6detail27GenericPackedTensorAccessorINS5_14TensorAccessorIN3c108ArrayRefIlEEKT1_Lm3ENS4_16DefaultPtrTraitsEiEENS_6detail16IndexBoundsCheckILm4EiEESC_Lm4ESD_iEENS6_INS7_ISA_SB_Lm3ESD_iEESH_SB_Lm4ESD_iEESI_T2_iiiiiiiiiiiiiii.has_dyn_sized_stack, 0
	.set _ZN2at6native12_GLOBAL__N_132conv_depthwise2d_backward_kernelILi0ELi1EdiEEvN5torch10headeronly6detail27GenericPackedTensorAccessorINS5_14TensorAccessorIN3c108ArrayRefIlEEKT1_Lm3ENS4_16DefaultPtrTraitsEiEENS_6detail16IndexBoundsCheckILm4EiEESC_Lm4ESD_iEENS6_INS7_ISA_SB_Lm3ESD_iEESH_SB_Lm4ESD_iEESI_T2_iiiiiiiiiiiiiii.has_recursion, 0
	.set _ZN2at6native12_GLOBAL__N_132conv_depthwise2d_backward_kernelILi0ELi1EdiEEvN5torch10headeronly6detail27GenericPackedTensorAccessorINS5_14TensorAccessorIN3c108ArrayRefIlEEKT1_Lm3ENS4_16DefaultPtrTraitsEiEENS_6detail16IndexBoundsCheckILm4EiEESC_Lm4ESD_iEENS6_INS7_ISA_SB_Lm3ESD_iEESH_SB_Lm4ESD_iEESI_T2_iiiiiiiiiiiiiii.has_indirect_call, 0
	.section	.AMDGPU.csdata,"",@progbits
; Kernel info:
; codeLenInByte = 1068
; TotalNumSgprs: 56
; NumVgprs: 23
; ScratchSize: 0
; MemoryBound: 0
; FloatMode: 240
; IeeeMode: 1
; LDSByteSize: 0 bytes/workgroup (compile time only)
; SGPRBlocks: 6
; VGPRBlocks: 5
; NumSGPRsForWavesPerEU: 56
; NumVGPRsForWavesPerEU: 23
; Occupancy: 10
; WaveLimiterHint : 0
; COMPUTE_PGM_RSRC2:SCRATCH_EN: 0
; COMPUTE_PGM_RSRC2:USER_SGPR: 6
; COMPUTE_PGM_RSRC2:TRAP_HANDLER: 0
; COMPUTE_PGM_RSRC2:TGID_X_EN: 1
; COMPUTE_PGM_RSRC2:TGID_Y_EN: 0
; COMPUTE_PGM_RSRC2:TGID_Z_EN: 0
; COMPUTE_PGM_RSRC2:TIDIG_COMP_CNT: 0
	.section	.text._ZN2at6native12_GLOBAL__N_132conv_depthwise2d_backward_kernelILi0ELi2EdiEEvN5torch10headeronly6detail27GenericPackedTensorAccessorINS5_14TensorAccessorIN3c108ArrayRefIlEEKT1_Lm3ENS4_16DefaultPtrTraitsEiEENS_6detail16IndexBoundsCheckILm4EiEESC_Lm4ESD_iEENS6_INS7_ISA_SB_Lm3ESD_iEESH_SB_Lm4ESD_iEESI_T2_iiiiiiiiiiiiiii,"axG",@progbits,_ZN2at6native12_GLOBAL__N_132conv_depthwise2d_backward_kernelILi0ELi2EdiEEvN5torch10headeronly6detail27GenericPackedTensorAccessorINS5_14TensorAccessorIN3c108ArrayRefIlEEKT1_Lm3ENS4_16DefaultPtrTraitsEiEENS_6detail16IndexBoundsCheckILm4EiEESC_Lm4ESD_iEENS6_INS7_ISA_SB_Lm3ESD_iEESH_SB_Lm4ESD_iEESI_T2_iiiiiiiiiiiiiii,comdat
	.globl	_ZN2at6native12_GLOBAL__N_132conv_depthwise2d_backward_kernelILi0ELi2EdiEEvN5torch10headeronly6detail27GenericPackedTensorAccessorINS5_14TensorAccessorIN3c108ArrayRefIlEEKT1_Lm3ENS4_16DefaultPtrTraitsEiEENS_6detail16IndexBoundsCheckILm4EiEESC_Lm4ESD_iEENS6_INS7_ISA_SB_Lm3ESD_iEESH_SB_Lm4ESD_iEESI_T2_iiiiiiiiiiiiiii ; -- Begin function _ZN2at6native12_GLOBAL__N_132conv_depthwise2d_backward_kernelILi0ELi2EdiEEvN5torch10headeronly6detail27GenericPackedTensorAccessorINS5_14TensorAccessorIN3c108ArrayRefIlEEKT1_Lm3ENS4_16DefaultPtrTraitsEiEENS_6detail16IndexBoundsCheckILm4EiEESC_Lm4ESD_iEENS6_INS7_ISA_SB_Lm3ESD_iEESH_SB_Lm4ESD_iEESI_T2_iiiiiiiiiiiiiii
	.p2align	8
	.type	_ZN2at6native12_GLOBAL__N_132conv_depthwise2d_backward_kernelILi0ELi2EdiEEvN5torch10headeronly6detail27GenericPackedTensorAccessorINS5_14TensorAccessorIN3c108ArrayRefIlEEKT1_Lm3ENS4_16DefaultPtrTraitsEiEENS_6detail16IndexBoundsCheckILm4EiEESC_Lm4ESD_iEENS6_INS7_ISA_SB_Lm3ESD_iEESH_SB_Lm4ESD_iEESI_T2_iiiiiiiiiiiiiii,@function
_ZN2at6native12_GLOBAL__N_132conv_depthwise2d_backward_kernelILi0ELi2EdiEEvN5torch10headeronly6detail27GenericPackedTensorAccessorINS5_14TensorAccessorIN3c108ArrayRefIlEEKT1_Lm3ENS4_16DefaultPtrTraitsEiEENS_6detail16IndexBoundsCheckILm4EiEESC_Lm4ESD_iEENS6_INS7_ISA_SB_Lm3ESD_iEESH_SB_Lm4ESD_iEESI_T2_iiiiiiiiiiiiiii: ; @_ZN2at6native12_GLOBAL__N_132conv_depthwise2d_backward_kernelILi0ELi2EdiEEvN5torch10headeronly6detail27GenericPackedTensorAccessorINS5_14TensorAccessorIN3c108ArrayRefIlEEKT1_Lm3ENS4_16DefaultPtrTraitsEiEENS_6detail16IndexBoundsCheckILm4EiEESC_Lm4ESD_iEENS6_INS7_ISA_SB_Lm3ESD_iEESH_SB_Lm4ESD_iEESI_T2_iiiiiiiiiiiiiii
; %bb.0:
	s_load_dword s2, s[4:5], 0xc4
	s_load_dwordx8 s[12:19], s[4:5], 0x78
	s_add_u32 s0, s4, 0xb8
	s_addc_u32 s1, s5, 0
	v_mov_b32_e32 v1, 0
	s_waitcnt lgkmcnt(0)
	s_and_b32 s2, s2, 0xffff
	v_mov_b32_e32 v2, s6
	v_mad_u64_u32 v[1:2], s[8:9], s2, v2, v[0:1]
	s_ashr_i32 s11, s12, 31
	s_mov_b32 s10, s12
	v_cmp_gt_i64_e32 vcc, s[10:11], v[1:2]
	s_and_saveexec_b64 s[8:9], vcc
	s_cbranch_execz .LBB26_19
; %bb.1:
	s_load_dwordx2 s[24:25], s[4:5], 0x98
	s_load_dwordx2 s[26:27], s[4:5], 0x50
	s_cmp_gt_i32 s14, 0
	s_cselect_b64 s[8:9], -1, 0
	s_load_dwordx2 s[34:35], s[4:5], 0x0
	s_load_dwordx2 s[36:37], s[4:5], 0x28
	s_waitcnt lgkmcnt(0)
	s_cmp_gt_i32 s25, 0
	s_cselect_b64 s[28:29], -1, 0
	s_cmp_gt_i32 s24, 0
	s_cselect_b64 s[30:31], -1, 0
	s_abs_i32 s12, s16
	v_cvt_f32_u32_e32 v3, s12
	s_abs_i32 s33, s17
	v_cvt_f32_u32_e32 v4, s33
	s_abs_i32 s44, s13
	v_rcp_iflag_f32_e32 v3, v3
	v_cvt_f32_u32_e32 v5, s44
	v_rcp_iflag_f32_e32 v4, v4
	s_load_dwordx4 s[20:23], s[4:5], 0xa8
	s_load_dword s3, s[0:1], 0x0
	v_mul_f32_e32 v3, 0x4f7ffffe, v3
	v_rcp_iflag_f32_e32 v5, v5
	v_cvt_u32_f32_e32 v3, v3
	v_mul_f32_e32 v4, 0x4f7ffffe, v4
	s_sub_i32 s0, 0, s12
	v_cvt_u32_f32_e32 v4, v4
	v_mul_f32_e32 v5, 0x4f7ffffe, v5
	v_mul_lo_u32 v6, s0, v3
	v_cvt_u32_f32_e32 v5, v5
	s_sub_i32 s0, 0, s33
	v_mul_lo_u32 v7, s0, v4
	s_sub_i32 s0, 0, s44
	v_mul_hi_u32 v6, v3, v6
	v_mul_lo_u32 v9, s0, v5
	v_mul_hi_u32 v7, v4, v7
	s_mul_i32 s0, s6, s2
	v_add_u32_e32 v8, v3, v6
	v_mul_hi_u32 v3, v5, v9
	s_waitcnt lgkmcnt(0)
	s_add_i32 s0, s0, s20
	s_mul_i32 s20, s25, s24
	s_mul_i32 s45, s3, s2
	v_add_u32_e32 v10, v5, v3
	v_cndmask_b32_e64 v3, 0, 1, s[8:9]
	s_ashr_i32 s46, s16, 31
	s_ashr_i32 s47, s17, 31
	v_add_u32_e32 v9, v4, v7
	s_ashr_i32 s48, s13, 31
	v_add_u32_e32 v0, s0, v0
	s_mul_i32 s49, s20, s14
	s_max_i32 s50, s24, 0
	s_mov_b64 s[38:39], 0
	v_cmp_ne_u32_e64 s[0:1], 1, v3
	s_branch .LBB26_4
.LBB26_2:                               ;   in Loop: Header=BB26_4 Depth=1
	v_mov_b32_e32 v3, 0
	v_mov_b32_e32 v4, 0
.LBB26_3:                               ;   in Loop: Header=BB26_4 Depth=1
	v_lshlrev_b64 v[5:6], 3, v[1:2]
	v_mov_b32_e32 v7, s37
	v_add_co_u32_e32 v5, vcc, s36, v5
	v_addc_co_u32_e32 v6, vcc, v7, v6, vcc
	v_add_co_u32_e32 v1, vcc, s45, v1
	v_addc_co_u32_e32 v2, vcc, 0, v2, vcc
	v_cmp_le_i64_e32 vcc, s[10:11], v[1:2]
	v_add_u32_e32 v0, s45, v0
	s_or_b64 s[38:39], vcc, s[38:39]
	global_store_dwordx2 v[5:6], v[3:4], off
	s_andn2_b64 exec, exec, s[38:39]
	s_cbranch_execz .LBB26_19
.LBB26_4:                               ; =>This Loop Header: Depth=1
                                        ;     Child Loop BB26_7 Depth 2
                                        ;       Child Loop BB26_10 Depth 3
                                        ;         Child Loop BB26_15 Depth 4
	s_and_b64 vcc, exec, s[0:1]
	s_cbranch_vccnz .LBB26_2
; %bb.5:                                ;   in Loop: Header=BB26_4 Depth=1
	v_sub_u32_e32 v3, 0, v1
	v_max_i32_e32 v3, v1, v3
	v_mul_hi_u32 v4, v3, v8
	v_ashrrev_i32_e32 v6, 31, v1
	v_xor_b32_e32 v6, s46, v6
	s_mov_b32 s51, 0
	v_mul_lo_u32 v5, v4, s12
	v_add_u32_e32 v7, 1, v4
	v_sub_u32_e32 v3, v3, v5
	v_cmp_le_u32_e32 vcc, s12, v3
	v_subrev_u32_e32 v5, s12, v3
	v_cndmask_b32_e32 v4, v4, v7, vcc
	v_cndmask_b32_e32 v3, v3, v5, vcc
	v_add_u32_e32 v5, 1, v4
	v_cmp_le_u32_e32 vcc, s12, v3
	v_cndmask_b32_e32 v3, v4, v5, vcc
	v_xor_b32_e32 v3, v3, v6
	v_sub_u32_e32 v3, v3, v6
	v_sub_u32_e32 v4, 0, v3
	v_max_i32_e32 v4, v3, v4
	v_mul_hi_u32 v5, v4, v9
	v_ashrrev_i32_e32 v7, 31, v3
	v_xor_b32_e32 v7, s47, v7
	v_add_u32_e32 v15, s21, v3
	v_mul_lo_u32 v6, v5, s33
	v_add_u32_e32 v11, 1, v5
	v_sub_u32_e32 v4, v4, v6
	v_cmp_le_u32_e32 vcc, s33, v4
	v_subrev_u32_e32 v6, s33, v4
	v_cndmask_b32_e32 v5, v5, v11, vcc
	v_cndmask_b32_e32 v4, v4, v6, vcc
	v_add_u32_e32 v6, 1, v5
	v_cmp_le_u32_e32 vcc, s33, v4
	v_cndmask_b32_e32 v4, v5, v6, vcc
	v_xor_b32_e32 v4, v4, v7
	v_sub_u32_e32 v4, v4, v7
	v_sub_u32_e32 v5, 0, v4
	v_max_i32_e32 v5, v4, v5
	v_mul_hi_u32 v6, v5, v10
	v_ashrrev_i32_e32 v11, 31, v4
	v_xor_b32_e32 v11, s48, v11
	v_mul_lo_u32 v7, v6, s44
	v_add_u32_e32 v12, 1, v6
	v_sub_u32_e32 v5, v5, v7
	v_cmp_le_u32_e32 vcc, s44, v5
	v_subrev_u32_e32 v7, s44, v5
	v_cndmask_b32_e32 v6, v6, v12, vcc
	v_cndmask_b32_e32 v5, v5, v7, vcc
	v_add_u32_e32 v7, 1, v6
	v_cmp_le_u32_e32 vcc, s44, v5
	v_cndmask_b32_e32 v5, v6, v7, vcc
	v_xor_b32_e32 v5, v5, v11
	v_sub_u32_e32 v5, v5, v11
	v_mul_lo_u32 v6, v5, s13
	v_mul_lo_u32 v7, s16, v3
	;; [unrolled: 1-line block ×4, first 2 shown]
	v_sub_u32_e32 v4, v4, v6
	v_mul_lo_u32 v12, v4, s14
	v_mul_lo_u32 v14, s49, v4
	v_mov_b32_e32 v3, 0
	v_mov_b32_e32 v4, 0
	v_sub_u32_e32 v16, v0, v7
	s_branch .LBB26_7
.LBB26_6:                               ;   in Loop: Header=BB26_7 Depth=2
	s_add_i32 s51, s51, 1
	s_cmp_eq_u32 s51, s14
	v_add_u32_e32 v14, s20, v14
	s_cbranch_scc1 .LBB26_3
.LBB26_7:                               ;   Parent Loop BB26_4 Depth=1
                                        ; =>  This Loop Header: Depth=2
                                        ;       Child Loop BB26_10 Depth 3
                                        ;         Child Loop BB26_15 Depth 4
	s_andn2_b64 vcc, exec, s[28:29]
	s_cbranch_vccnz .LBB26_6
; %bb.8:                                ;   in Loop: Header=BB26_7 Depth=2
	v_add3_u32 v5, s51, v12, v13
	v_mul_lo_u32 v17, v5, s19
	s_mov_b32 s52, 0
	v_mov_b32_e32 v5, v14
	s_branch .LBB26_10
.LBB26_9:                               ;   in Loop: Header=BB26_10 Depth=3
	s_add_i32 s52, s52, 1
	s_cmp_eq_u32 s52, s25
	v_add_u32_e32 v5, s50, v5
	s_cbranch_scc1 .LBB26_6
.LBB26_10:                              ;   Parent Loop BB26_4 Depth=1
                                        ;     Parent Loop BB26_7 Depth=2
                                        ; =>    This Loop Header: Depth=3
                                        ;         Child Loop BB26_15 Depth 4
	s_andn2_b64 vcc, exec, s[30:31]
	s_cbranch_vccnz .LBB26_9
; %bb.11:                               ;   in Loop: Header=BB26_10 Depth=3
	v_ashrrev_i32_e32 v6, 31, v5
	v_lshlrev_b64 v[6:7], 3, v[5:6]
	v_mov_b32_e32 v18, s27
	v_add_co_u32_e32 v6, vcc, s26, v6
	s_mul_i32 s2, s23, s52
	v_addc_co_u32_e32 v7, vcc, v18, v7, vcc
	v_add_u32_e32 v18, s2, v11
	v_sub_u32_e32 v18, v15, v18
	v_and_b32_e32 v19, 1, v18
	v_cmp_eq_u32_e32 vcc, 0, v19
	v_ashrrev_i32_e32 v19, 1, v18
	v_add_u32_e32 v18, v19, v17
	v_mul_lo_u32 v18, v18, s18
	v_cmp_lt_i32_e64 s[2:3], -1, v19
	v_cmp_gt_i32_e64 s[4:5], s19, v19
	s_mov_b32 s53, s24
	v_mov_b32_e32 v19, v16
	s_branch .LBB26_15
.LBB26_12:                              ;   in Loop: Header=BB26_15 Depth=4
	s_or_b64 exec, exec, s[8:9]
.LBB26_13:                              ;   in Loop: Header=BB26_15 Depth=4
	s_or_b64 exec, exec, s[42:43]
.LBB26_14:                              ;   in Loop: Header=BB26_15 Depth=4
	s_or_b64 exec, exec, s[40:41]
	s_add_i32 s53, s53, -1
	v_add_co_u32_e64 v6, s[6:7], 8, v6
	v_subrev_u32_e32 v19, s22, v19
	s_cmp_eq_u32 s53, 0
	v_addc_co_u32_e64 v7, s[6:7], 0, v7, s[6:7]
	s_cbranch_scc1 .LBB26_9
.LBB26_15:                              ;   Parent Loop BB26_4 Depth=1
                                        ;     Parent Loop BB26_7 Depth=2
                                        ;       Parent Loop BB26_10 Depth=3
                                        ; =>      This Inner Loop Header: Depth=4
	v_and_b32_e32 v20, 1, v19
	v_cmp_eq_u32_e64 s[6:7], 0, v20
	s_and_b64 s[6:7], vcc, s[6:7]
	s_and_saveexec_b64 s[40:41], s[6:7]
	s_cbranch_execz .LBB26_14
; %bb.16:                               ;   in Loop: Header=BB26_15 Depth=4
	s_and_saveexec_b64 s[42:43], s[2:3]
	s_cbranch_execz .LBB26_13
; %bb.17:                               ;   in Loop: Header=BB26_15 Depth=4
	v_ashrrev_i32_e32 v20, 1, v19
	v_cmp_lt_i32_e64 s[6:7], -1, v20
	v_cmp_gt_i32_e64 s[8:9], s18, v20
	s_and_b64 s[6:7], s[6:7], s[8:9]
	s_and_b64 s[6:7], s[4:5], s[6:7]
	s_and_saveexec_b64 s[8:9], s[6:7]
	s_cbranch_execz .LBB26_12
; %bb.18:                               ;   in Loop: Header=BB26_15 Depth=4
	v_add_u32_e32 v20, v20, v18
	v_ashrrev_i32_e32 v21, 31, v20
	v_lshlrev_b64 v[20:21], 3, v[20:21]
	v_mov_b32_e32 v24, s35
	v_add_co_u32_e64 v20, s[6:7], s34, v20
	v_addc_co_u32_e64 v21, s[6:7], v24, v21, s[6:7]
	global_load_dwordx2 v[22:23], v[6:7], off
	s_nop 0
	global_load_dwordx2 v[20:21], v[20:21], off
	s_waitcnt vmcnt(0)
	v_fma_f64 v[3:4], v[22:23], v[20:21], v[3:4]
	s_branch .LBB26_12
.LBB26_19:
	s_endpgm
	.section	.rodata,"a",@progbits
	.p2align	6, 0x0
	.amdhsa_kernel _ZN2at6native12_GLOBAL__N_132conv_depthwise2d_backward_kernelILi0ELi2EdiEEvN5torch10headeronly6detail27GenericPackedTensorAccessorINS5_14TensorAccessorIN3c108ArrayRefIlEEKT1_Lm3ENS4_16DefaultPtrTraitsEiEENS_6detail16IndexBoundsCheckILm4EiEESC_Lm4ESD_iEENS6_INS7_ISA_SB_Lm3ESD_iEESH_SB_Lm4ESD_iEESI_T2_iiiiiiiiiiiiiii
		.amdhsa_group_segment_fixed_size 0
		.amdhsa_private_segment_fixed_size 0
		.amdhsa_kernarg_size 440
		.amdhsa_user_sgpr_count 6
		.amdhsa_user_sgpr_private_segment_buffer 1
		.amdhsa_user_sgpr_dispatch_ptr 0
		.amdhsa_user_sgpr_queue_ptr 0
		.amdhsa_user_sgpr_kernarg_segment_ptr 1
		.amdhsa_user_sgpr_dispatch_id 0
		.amdhsa_user_sgpr_flat_scratch_init 0
		.amdhsa_user_sgpr_private_segment_size 0
		.amdhsa_uses_dynamic_stack 0
		.amdhsa_system_sgpr_private_segment_wavefront_offset 0
		.amdhsa_system_sgpr_workgroup_id_x 1
		.amdhsa_system_sgpr_workgroup_id_y 0
		.amdhsa_system_sgpr_workgroup_id_z 0
		.amdhsa_system_sgpr_workgroup_info 0
		.amdhsa_system_vgpr_workitem_id 0
		.amdhsa_next_free_vgpr 25
		.amdhsa_next_free_sgpr 54
		.amdhsa_reserve_vcc 1
		.amdhsa_reserve_flat_scratch 0
		.amdhsa_float_round_mode_32 0
		.amdhsa_float_round_mode_16_64 0
		.amdhsa_float_denorm_mode_32 3
		.amdhsa_float_denorm_mode_16_64 3
		.amdhsa_dx10_clamp 1
		.amdhsa_ieee_mode 1
		.amdhsa_fp16_overflow 0
		.amdhsa_exception_fp_ieee_invalid_op 0
		.amdhsa_exception_fp_denorm_src 0
		.amdhsa_exception_fp_ieee_div_zero 0
		.amdhsa_exception_fp_ieee_overflow 0
		.amdhsa_exception_fp_ieee_underflow 0
		.amdhsa_exception_fp_ieee_inexact 0
		.amdhsa_exception_int_div_zero 0
	.end_amdhsa_kernel
	.section	.text._ZN2at6native12_GLOBAL__N_132conv_depthwise2d_backward_kernelILi0ELi2EdiEEvN5torch10headeronly6detail27GenericPackedTensorAccessorINS5_14TensorAccessorIN3c108ArrayRefIlEEKT1_Lm3ENS4_16DefaultPtrTraitsEiEENS_6detail16IndexBoundsCheckILm4EiEESC_Lm4ESD_iEENS6_INS7_ISA_SB_Lm3ESD_iEESH_SB_Lm4ESD_iEESI_T2_iiiiiiiiiiiiiii,"axG",@progbits,_ZN2at6native12_GLOBAL__N_132conv_depthwise2d_backward_kernelILi0ELi2EdiEEvN5torch10headeronly6detail27GenericPackedTensorAccessorINS5_14TensorAccessorIN3c108ArrayRefIlEEKT1_Lm3ENS4_16DefaultPtrTraitsEiEENS_6detail16IndexBoundsCheckILm4EiEESC_Lm4ESD_iEENS6_INS7_ISA_SB_Lm3ESD_iEESH_SB_Lm4ESD_iEESI_T2_iiiiiiiiiiiiiii,comdat
.Lfunc_end26:
	.size	_ZN2at6native12_GLOBAL__N_132conv_depthwise2d_backward_kernelILi0ELi2EdiEEvN5torch10headeronly6detail27GenericPackedTensorAccessorINS5_14TensorAccessorIN3c108ArrayRefIlEEKT1_Lm3ENS4_16DefaultPtrTraitsEiEENS_6detail16IndexBoundsCheckILm4EiEESC_Lm4ESD_iEENS6_INS7_ISA_SB_Lm3ESD_iEESH_SB_Lm4ESD_iEESI_T2_iiiiiiiiiiiiiii, .Lfunc_end26-_ZN2at6native12_GLOBAL__N_132conv_depthwise2d_backward_kernelILi0ELi2EdiEEvN5torch10headeronly6detail27GenericPackedTensorAccessorINS5_14TensorAccessorIN3c108ArrayRefIlEEKT1_Lm3ENS4_16DefaultPtrTraitsEiEENS_6detail16IndexBoundsCheckILm4EiEESC_Lm4ESD_iEENS6_INS7_ISA_SB_Lm3ESD_iEESH_SB_Lm4ESD_iEESI_T2_iiiiiiiiiiiiiii
                                        ; -- End function
	.set _ZN2at6native12_GLOBAL__N_132conv_depthwise2d_backward_kernelILi0ELi2EdiEEvN5torch10headeronly6detail27GenericPackedTensorAccessorINS5_14TensorAccessorIN3c108ArrayRefIlEEKT1_Lm3ENS4_16DefaultPtrTraitsEiEENS_6detail16IndexBoundsCheckILm4EiEESC_Lm4ESD_iEENS6_INS7_ISA_SB_Lm3ESD_iEESH_SB_Lm4ESD_iEESI_T2_iiiiiiiiiiiiiii.num_vgpr, 25
	.set _ZN2at6native12_GLOBAL__N_132conv_depthwise2d_backward_kernelILi0ELi2EdiEEvN5torch10headeronly6detail27GenericPackedTensorAccessorINS5_14TensorAccessorIN3c108ArrayRefIlEEKT1_Lm3ENS4_16DefaultPtrTraitsEiEENS_6detail16IndexBoundsCheckILm4EiEESC_Lm4ESD_iEENS6_INS7_ISA_SB_Lm3ESD_iEESH_SB_Lm4ESD_iEESI_T2_iiiiiiiiiiiiiii.num_agpr, 0
	.set _ZN2at6native12_GLOBAL__N_132conv_depthwise2d_backward_kernelILi0ELi2EdiEEvN5torch10headeronly6detail27GenericPackedTensorAccessorINS5_14TensorAccessorIN3c108ArrayRefIlEEKT1_Lm3ENS4_16DefaultPtrTraitsEiEENS_6detail16IndexBoundsCheckILm4EiEESC_Lm4ESD_iEENS6_INS7_ISA_SB_Lm3ESD_iEESH_SB_Lm4ESD_iEESI_T2_iiiiiiiiiiiiiii.numbered_sgpr, 54
	.set _ZN2at6native12_GLOBAL__N_132conv_depthwise2d_backward_kernelILi0ELi2EdiEEvN5torch10headeronly6detail27GenericPackedTensorAccessorINS5_14TensorAccessorIN3c108ArrayRefIlEEKT1_Lm3ENS4_16DefaultPtrTraitsEiEENS_6detail16IndexBoundsCheckILm4EiEESC_Lm4ESD_iEENS6_INS7_ISA_SB_Lm3ESD_iEESH_SB_Lm4ESD_iEESI_T2_iiiiiiiiiiiiiii.num_named_barrier, 0
	.set _ZN2at6native12_GLOBAL__N_132conv_depthwise2d_backward_kernelILi0ELi2EdiEEvN5torch10headeronly6detail27GenericPackedTensorAccessorINS5_14TensorAccessorIN3c108ArrayRefIlEEKT1_Lm3ENS4_16DefaultPtrTraitsEiEENS_6detail16IndexBoundsCheckILm4EiEESC_Lm4ESD_iEENS6_INS7_ISA_SB_Lm3ESD_iEESH_SB_Lm4ESD_iEESI_T2_iiiiiiiiiiiiiii.private_seg_size, 0
	.set _ZN2at6native12_GLOBAL__N_132conv_depthwise2d_backward_kernelILi0ELi2EdiEEvN5torch10headeronly6detail27GenericPackedTensorAccessorINS5_14TensorAccessorIN3c108ArrayRefIlEEKT1_Lm3ENS4_16DefaultPtrTraitsEiEENS_6detail16IndexBoundsCheckILm4EiEESC_Lm4ESD_iEENS6_INS7_ISA_SB_Lm3ESD_iEESH_SB_Lm4ESD_iEESI_T2_iiiiiiiiiiiiiii.uses_vcc, 1
	.set _ZN2at6native12_GLOBAL__N_132conv_depthwise2d_backward_kernelILi0ELi2EdiEEvN5torch10headeronly6detail27GenericPackedTensorAccessorINS5_14TensorAccessorIN3c108ArrayRefIlEEKT1_Lm3ENS4_16DefaultPtrTraitsEiEENS_6detail16IndexBoundsCheckILm4EiEESC_Lm4ESD_iEENS6_INS7_ISA_SB_Lm3ESD_iEESH_SB_Lm4ESD_iEESI_T2_iiiiiiiiiiiiiii.uses_flat_scratch, 0
	.set _ZN2at6native12_GLOBAL__N_132conv_depthwise2d_backward_kernelILi0ELi2EdiEEvN5torch10headeronly6detail27GenericPackedTensorAccessorINS5_14TensorAccessorIN3c108ArrayRefIlEEKT1_Lm3ENS4_16DefaultPtrTraitsEiEENS_6detail16IndexBoundsCheckILm4EiEESC_Lm4ESD_iEENS6_INS7_ISA_SB_Lm3ESD_iEESH_SB_Lm4ESD_iEESI_T2_iiiiiiiiiiiiiii.has_dyn_sized_stack, 0
	.set _ZN2at6native12_GLOBAL__N_132conv_depthwise2d_backward_kernelILi0ELi2EdiEEvN5torch10headeronly6detail27GenericPackedTensorAccessorINS5_14TensorAccessorIN3c108ArrayRefIlEEKT1_Lm3ENS4_16DefaultPtrTraitsEiEENS_6detail16IndexBoundsCheckILm4EiEESC_Lm4ESD_iEENS6_INS7_ISA_SB_Lm3ESD_iEESH_SB_Lm4ESD_iEESI_T2_iiiiiiiiiiiiiii.has_recursion, 0
	.set _ZN2at6native12_GLOBAL__N_132conv_depthwise2d_backward_kernelILi0ELi2EdiEEvN5torch10headeronly6detail27GenericPackedTensorAccessorINS5_14TensorAccessorIN3c108ArrayRefIlEEKT1_Lm3ENS4_16DefaultPtrTraitsEiEENS_6detail16IndexBoundsCheckILm4EiEESC_Lm4ESD_iEENS6_INS7_ISA_SB_Lm3ESD_iEESH_SB_Lm4ESD_iEESI_T2_iiiiiiiiiiiiiii.has_indirect_call, 0
	.section	.AMDGPU.csdata,"",@progbits
; Kernel info:
; codeLenInByte = 1092
; TotalNumSgprs: 58
; NumVgprs: 25
; ScratchSize: 0
; MemoryBound: 0
; FloatMode: 240
; IeeeMode: 1
; LDSByteSize: 0 bytes/workgroup (compile time only)
; SGPRBlocks: 7
; VGPRBlocks: 6
; NumSGPRsForWavesPerEU: 58
; NumVGPRsForWavesPerEU: 25
; Occupancy: 9
; WaveLimiterHint : 0
; COMPUTE_PGM_RSRC2:SCRATCH_EN: 0
; COMPUTE_PGM_RSRC2:USER_SGPR: 6
; COMPUTE_PGM_RSRC2:TRAP_HANDLER: 0
; COMPUTE_PGM_RSRC2:TGID_X_EN: 1
; COMPUTE_PGM_RSRC2:TGID_Y_EN: 0
; COMPUTE_PGM_RSRC2:TGID_Z_EN: 0
; COMPUTE_PGM_RSRC2:TIDIG_COMP_CNT: 0
	.section	.text._ZN2at6native12_GLOBAL__N_132conv_depthwise2d_backward_kernelILi0ELi0EdiEEvN5torch10headeronly6detail27GenericPackedTensorAccessorINS5_14TensorAccessorIN3c108ArrayRefIlEEKT1_Lm3ENS4_16DefaultPtrTraitsEiEENS_6detail16IndexBoundsCheckILm4EiEESC_Lm4ESD_iEENS6_INS7_ISA_SB_Lm3ESD_iEESH_SB_Lm4ESD_iEESI_T2_iiiiiiiiiiiiiii,"axG",@progbits,_ZN2at6native12_GLOBAL__N_132conv_depthwise2d_backward_kernelILi0ELi0EdiEEvN5torch10headeronly6detail27GenericPackedTensorAccessorINS5_14TensorAccessorIN3c108ArrayRefIlEEKT1_Lm3ENS4_16DefaultPtrTraitsEiEENS_6detail16IndexBoundsCheckILm4EiEESC_Lm4ESD_iEENS6_INS7_ISA_SB_Lm3ESD_iEESH_SB_Lm4ESD_iEESI_T2_iiiiiiiiiiiiiii,comdat
	.globl	_ZN2at6native12_GLOBAL__N_132conv_depthwise2d_backward_kernelILi0ELi0EdiEEvN5torch10headeronly6detail27GenericPackedTensorAccessorINS5_14TensorAccessorIN3c108ArrayRefIlEEKT1_Lm3ENS4_16DefaultPtrTraitsEiEENS_6detail16IndexBoundsCheckILm4EiEESC_Lm4ESD_iEENS6_INS7_ISA_SB_Lm3ESD_iEESH_SB_Lm4ESD_iEESI_T2_iiiiiiiiiiiiiii ; -- Begin function _ZN2at6native12_GLOBAL__N_132conv_depthwise2d_backward_kernelILi0ELi0EdiEEvN5torch10headeronly6detail27GenericPackedTensorAccessorINS5_14TensorAccessorIN3c108ArrayRefIlEEKT1_Lm3ENS4_16DefaultPtrTraitsEiEENS_6detail16IndexBoundsCheckILm4EiEESC_Lm4ESD_iEENS6_INS7_ISA_SB_Lm3ESD_iEESH_SB_Lm4ESD_iEESI_T2_iiiiiiiiiiiiiii
	.p2align	8
	.type	_ZN2at6native12_GLOBAL__N_132conv_depthwise2d_backward_kernelILi0ELi0EdiEEvN5torch10headeronly6detail27GenericPackedTensorAccessorINS5_14TensorAccessorIN3c108ArrayRefIlEEKT1_Lm3ENS4_16DefaultPtrTraitsEiEENS_6detail16IndexBoundsCheckILm4EiEESC_Lm4ESD_iEENS6_INS7_ISA_SB_Lm3ESD_iEESH_SB_Lm4ESD_iEESI_T2_iiiiiiiiiiiiiii,@function
_ZN2at6native12_GLOBAL__N_132conv_depthwise2d_backward_kernelILi0ELi0EdiEEvN5torch10headeronly6detail27GenericPackedTensorAccessorINS5_14TensorAccessorIN3c108ArrayRefIlEEKT1_Lm3ENS4_16DefaultPtrTraitsEiEENS_6detail16IndexBoundsCheckILm4EiEESC_Lm4ESD_iEENS6_INS7_ISA_SB_Lm3ESD_iEESH_SB_Lm4ESD_iEESI_T2_iiiiiiiiiiiiiii: ; @_ZN2at6native12_GLOBAL__N_132conv_depthwise2d_backward_kernelILi0ELi0EdiEEvN5torch10headeronly6detail27GenericPackedTensorAccessorINS5_14TensorAccessorIN3c108ArrayRefIlEEKT1_Lm3ENS4_16DefaultPtrTraitsEiEENS_6detail16IndexBoundsCheckILm4EiEESC_Lm4ESD_iEENS6_INS7_ISA_SB_Lm3ESD_iEESH_SB_Lm4ESD_iEESI_T2_iiiiiiiiiiiiiii
; %bb.0:
	s_load_dword s2, s[4:5], 0xc4
	s_load_dwordx16 s[12:27], s[4:5], 0x78
	s_add_u32 s0, s4, 0xb8
	s_addc_u32 s1, s5, 0
	v_mov_b32_e32 v1, 0
	s_waitcnt lgkmcnt(0)
	s_and_b32 s2, s2, 0xffff
	v_mov_b32_e32 v2, s6
	v_mad_u64_u32 v[1:2], s[8:9], s2, v2, v[0:1]
	s_ashr_i32 s11, s12, 31
	s_mov_b32 s10, s12
	v_cmp_gt_i64_e32 vcc, s[10:11], v[1:2]
	s_and_saveexec_b64 s[8:9], vcc
	s_cbranch_execz .LBB27_19
; %bb.1:
	s_cmp_gt_i32 s14, 0
	s_load_dword s3, s[0:1], 0x0
	s_cselect_b64 s[0:1], -1, 0
	s_cmp_gt_i32 s21, 0
	s_cselect_b64 s[28:29], -1, 0
	s_cmp_gt_i32 s20, 0
	s_cselect_b64 s[30:31], -1, 0
	s_abs_i32 s12, s16
	v_cvt_f32_u32_e32 v3, s12
	s_abs_i32 s33, s17
	v_cvt_f32_u32_e32 v4, s33
	s_waitcnt lgkmcnt(0)
	s_mul_i32 s46, s3, s2
	v_rcp_iflag_f32_e32 v3, v3
	s_sub_i32 s3, 0, s12
	v_rcp_iflag_f32_e32 v4, v4
	s_abs_i32 s48, s13
	v_mul_f32_e32 v3, 0x4f7ffffe, v3
	v_cvt_u32_f32_e32 v3, v3
	v_mul_f32_e32 v4, 0x4f7ffffe, v4
	v_cvt_f32_u32_e32 v6, s48
	v_cvt_u32_f32_e32 v4, v4
	v_mul_lo_u32 v5, s3, v3
	s_sub_i32 s3, 0, s33
	v_rcp_iflag_f32_e32 v6, v6
	v_mul_lo_u32 v7, s3, v4
	v_mul_hi_u32 v5, v3, v5
	s_abs_i32 s50, s23
	s_abs_i32 s51, s22
	s_sub_i32 s3, 0, s48
	v_add_u32_e32 v8, v3, v5
	v_mul_f32_e32 v5, 0x4f7ffffe, v6
	v_cvt_f32_u32_e32 v6, s50
	v_mul_hi_u32 v3, v4, v7
	v_cvt_f32_u32_e32 v7, s51
	v_cvt_u32_f32_e32 v5, v5
	v_rcp_iflag_f32_e32 v6, v6
	v_add_u32_e32 v9, v4, v3
	v_rcp_iflag_f32_e32 v3, v7
	v_mul_lo_u32 v10, s3, v5
	v_mul_f32_e32 v6, 0x4f7ffffe, v6
	v_cvt_u32_f32_e32 v6, v6
	v_mul_f32_e32 v3, 0x4f7ffffe, v3
	v_cvt_u32_f32_e32 v3, v3
	s_sub_i32 s3, 0, s50
	v_mul_lo_u32 v7, s3, v6
	s_sub_i32 s3, 0, s51
	v_mul_hi_u32 v4, v5, v10
	v_mul_lo_u32 v11, s3, v3
	s_load_dwordx2 s[34:35], s[4:5], 0x0
	s_load_dwordx2 s[36:37], s[4:5], 0x28
	;; [unrolled: 1-line block ×3, first 2 shown]
	v_mul_hi_u32 v7, v6, v7
	v_add_u32_e32 v10, v5, v4
	v_mul_hi_u32 v4, v3, v11
	s_mul_i32 s2, s6, s2
	s_add_i32 s2, s2, s24
	s_mul_i32 s24, s21, s20
	v_add_u32_e32 v12, v3, v4
	v_cndmask_b32_e64 v3, 0, 1, s[0:1]
	s_ashr_i32 s47, s16, 31
	s_ashr_i32 s49, s17, 31
	;; [unrolled: 1-line block ×4, first 2 shown]
	v_add_u32_e32 v11, v6, v7
	s_ashr_i32 s54, s22, 31
	v_add_u32_e32 v0, s2, v0
	s_mul_i32 s55, s24, s14
	s_max_i32 s56, s20, 0
	s_mov_b64 s[40:41], 0
	v_cmp_ne_u32_e64 s[0:1], 1, v3
	s_branch .LBB27_4
.LBB27_2:                               ;   in Loop: Header=BB27_4 Depth=1
	v_mov_b32_e32 v3, 0
	v_mov_b32_e32 v4, 0
.LBB27_3:                               ;   in Loop: Header=BB27_4 Depth=1
	v_lshlrev_b64 v[5:6], 3, v[1:2]
	s_waitcnt lgkmcnt(0)
	v_mov_b32_e32 v7, s37
	v_add_co_u32_e32 v5, vcc, s36, v5
	v_addc_co_u32_e32 v6, vcc, v7, v6, vcc
	v_add_co_u32_e32 v1, vcc, s46, v1
	v_addc_co_u32_e32 v2, vcc, 0, v2, vcc
	v_cmp_le_i64_e32 vcc, s[10:11], v[1:2]
	v_add_u32_e32 v0, s46, v0
	s_or_b64 s[40:41], vcc, s[40:41]
	global_store_dwordx2 v[5:6], v[3:4], off
	s_andn2_b64 exec, exec, s[40:41]
	s_cbranch_execz .LBB27_19
.LBB27_4:                               ; =>This Loop Header: Depth=1
                                        ;     Child Loop BB27_7 Depth 2
                                        ;       Child Loop BB27_10 Depth 3
                                        ;         Child Loop BB27_15 Depth 4
	s_and_b64 vcc, exec, s[0:1]
	s_cbranch_vccnz .LBB27_2
; %bb.5:                                ;   in Loop: Header=BB27_4 Depth=1
	v_sub_u32_e32 v3, 0, v1
	v_max_i32_e32 v3, v1, v3
	v_mul_hi_u32 v4, v3, v8
	v_ashrrev_i32_e32 v6, 31, v1
	v_xor_b32_e32 v6, s47, v6
	s_mov_b32 s57, 0
	v_mul_lo_u32 v5, v4, s12
	v_add_u32_e32 v7, 1, v4
	v_sub_u32_e32 v3, v3, v5
	v_cmp_le_u32_e32 vcc, s12, v3
	v_subrev_u32_e32 v5, s12, v3
	v_cndmask_b32_e32 v4, v4, v7, vcc
	v_cndmask_b32_e32 v3, v3, v5, vcc
	v_add_u32_e32 v5, 1, v4
	v_cmp_le_u32_e32 vcc, s12, v3
	v_cndmask_b32_e32 v3, v4, v5, vcc
	v_xor_b32_e32 v3, v3, v6
	v_sub_u32_e32 v3, v3, v6
	v_sub_u32_e32 v4, 0, v3
	v_max_i32_e32 v4, v3, v4
	v_mul_hi_u32 v5, v4, v9
	v_ashrrev_i32_e32 v7, 31, v3
	v_xor_b32_e32 v7, s49, v7
	v_add_u32_e32 v17, s25, v3
	v_mul_lo_u32 v6, v5, s33
	v_add_u32_e32 v13, 1, v5
	v_sub_u32_e32 v4, v4, v6
	v_cmp_le_u32_e32 vcc, s33, v4
	v_subrev_u32_e32 v6, s33, v4
	v_cndmask_b32_e32 v5, v5, v13, vcc
	v_cndmask_b32_e32 v4, v4, v6, vcc
	v_add_u32_e32 v6, 1, v5
	v_cmp_le_u32_e32 vcc, s33, v4
	v_cndmask_b32_e32 v4, v5, v6, vcc
	v_xor_b32_e32 v4, v4, v7
	v_sub_u32_e32 v4, v4, v7
	v_sub_u32_e32 v5, 0, v4
	v_max_i32_e32 v5, v4, v5
	v_mul_hi_u32 v6, v5, v10
	v_ashrrev_i32_e32 v13, 31, v4
	v_xor_b32_e32 v13, s52, v13
	v_mul_lo_u32 v7, v6, s48
	v_add_u32_e32 v14, 1, v6
	v_sub_u32_e32 v5, v5, v7
	v_cmp_le_u32_e32 vcc, s48, v5
	v_subrev_u32_e32 v7, s48, v5
	v_cndmask_b32_e32 v6, v6, v14, vcc
	v_cndmask_b32_e32 v5, v5, v7, vcc
	v_add_u32_e32 v7, 1, v6
	v_cmp_le_u32_e32 vcc, s48, v5
	v_cndmask_b32_e32 v5, v6, v7, vcc
	v_xor_b32_e32 v5, v5, v13
	v_sub_u32_e32 v5, v5, v13
	v_mul_lo_u32 v6, v5, s13
	v_mul_lo_u32 v7, s16, v3
	;; [unrolled: 1-line block ×4, first 2 shown]
	v_sub_u32_e32 v4, v4, v6
	v_mul_lo_u32 v14, v4, s14
	v_mul_lo_u32 v16, s55, v4
	v_mov_b32_e32 v3, 0
	v_mov_b32_e32 v4, 0
	v_sub_u32_e32 v18, v0, v7
	s_branch .LBB27_7
.LBB27_6:                               ;   in Loop: Header=BB27_7 Depth=2
	s_add_i32 s57, s57, 1
	s_cmp_eq_u32 s57, s14
	v_add_u32_e32 v16, s24, v16
	s_cbranch_scc1 .LBB27_3
.LBB27_7:                               ;   Parent Loop BB27_4 Depth=1
                                        ; =>  This Loop Header: Depth=2
                                        ;       Child Loop BB27_10 Depth 3
                                        ;         Child Loop BB27_15 Depth 4
	s_andn2_b64 vcc, exec, s[28:29]
	s_cbranch_vccnz .LBB27_6
; %bb.8:                                ;   in Loop: Header=BB27_7 Depth=2
	v_add3_u32 v5, s57, v14, v15
	v_mul_lo_u32 v19, v5, s19
	s_mov_b32 s58, 0
	v_mov_b32_e32 v5, v16
	s_branch .LBB27_10
.LBB27_9:                               ;   in Loop: Header=BB27_10 Depth=3
	s_add_i32 s58, s58, 1
	s_cmp_eq_u32 s58, s21
	v_add_u32_e32 v5, s56, v5
	s_cbranch_scc1 .LBB27_6
.LBB27_10:                              ;   Parent Loop BB27_4 Depth=1
                                        ;     Parent Loop BB27_7 Depth=2
                                        ; =>    This Loop Header: Depth=3
                                        ;         Child Loop BB27_15 Depth 4
	s_andn2_b64 vcc, exec, s[30:31]
	s_cbranch_vccnz .LBB27_9
; %bb.11:                               ;   in Loop: Header=BB27_10 Depth=3
	s_mul_i32 s2, s27, s58
	v_add_u32_e32 v6, s2, v13
	v_sub_u32_e32 v20, v17, v6
	v_sub_u32_e32 v6, 0, v20
	v_max_i32_e32 v21, v20, v6
	v_mul_hi_u32 v22, v21, v11
	v_ashrrev_i32_e32 v25, 31, v20
	v_xor_b32_e32 v25, s53, v25
	v_ashrrev_i32_e32 v6, 31, v5
	v_mul_lo_u32 v24, v22, s50
	v_add_u32_e32 v26, 1, v22
	v_lshlrev_b64 v[6:7], 3, v[5:6]
	s_waitcnt lgkmcnt(0)
	v_mov_b32_e32 v23, s39
	v_sub_u32_e32 v21, v21, v24
	v_cmp_le_u32_e32 vcc, s50, v21
	v_subrev_u32_e32 v24, s50, v21
	v_cndmask_b32_e32 v22, v22, v26, vcc
	v_cndmask_b32_e32 v21, v21, v24, vcc
	v_add_u32_e32 v24, 1, v22
	v_cmp_le_u32_e32 vcc, s50, v21
	v_cndmask_b32_e32 v21, v22, v24, vcc
	v_xor_b32_e32 v21, v21, v25
	v_sub_u32_e32 v21, v21, v25
	v_mul_lo_u32 v22, v21, s23
	v_add_co_u32_e32 v6, vcc, s38, v6
	v_addc_co_u32_e32 v7, vcc, v23, v7, vcc
	v_sub_u32_e32 v20, v20, v22
	v_cmp_eq_u32_e32 vcc, 0, v20
	v_add_u32_e32 v20, v21, v19
	v_mul_lo_u32 v20, v20, s18
	v_cmp_lt_i32_e64 s[2:3], -1, v21
	v_cmp_gt_i32_e64 s[4:5], s19, v21
	s_mov_b32 s59, s20
	v_mov_b32_e32 v21, v18
	s_branch .LBB27_15
.LBB27_12:                              ;   in Loop: Header=BB27_15 Depth=4
	s_or_b64 exec, exec, s[8:9]
.LBB27_13:                              ;   in Loop: Header=BB27_15 Depth=4
	s_or_b64 exec, exec, s[44:45]
.LBB27_14:                              ;   in Loop: Header=BB27_15 Depth=4
	s_or_b64 exec, exec, s[42:43]
	s_add_i32 s59, s59, -1
	v_add_co_u32_e64 v6, s[6:7], 8, v6
	v_subrev_u32_e32 v21, s26, v21
	s_cmp_eq_u32 s59, 0
	v_addc_co_u32_e64 v7, s[6:7], 0, v7, s[6:7]
	s_cbranch_scc1 .LBB27_9
.LBB27_15:                              ;   Parent Loop BB27_4 Depth=1
                                        ;     Parent Loop BB27_7 Depth=2
                                        ;       Parent Loop BB27_10 Depth=3
                                        ; =>      This Inner Loop Header: Depth=4
	s_and_saveexec_b64 s[42:43], vcc
	s_cbranch_execz .LBB27_14
; %bb.16:                               ;   in Loop: Header=BB27_15 Depth=4
	v_sub_u32_e32 v22, 0, v21
	v_max_i32_e32 v22, v21, v22
	v_mul_hi_u32 v23, v22, v12
	v_ashrrev_i32_e32 v25, 31, v21
	v_xor_b32_e32 v25, s54, v25
	v_mul_lo_u32 v24, v23, s51
	v_add_u32_e32 v26, 1, v23
	v_sub_u32_e32 v22, v22, v24
	v_cmp_le_u32_e64 s[6:7], s51, v22
	v_subrev_u32_e32 v24, s51, v22
	v_cndmask_b32_e64 v23, v23, v26, s[6:7]
	v_cndmask_b32_e64 v22, v22, v24, s[6:7]
	v_add_u32_e32 v24, 1, v23
	v_cmp_le_u32_e64 s[6:7], s51, v22
	v_cndmask_b32_e64 v22, v23, v24, s[6:7]
	v_xor_b32_e32 v22, v22, v25
	v_sub_u32_e32 v22, v22, v25
	v_mul_lo_u32 v23, v22, s22
	v_sub_u32_e32 v23, v21, v23
	v_cmp_eq_u32_e64 s[6:7], 0, v23
	s_and_b64 s[6:7], s[6:7], s[2:3]
	s_and_saveexec_b64 s[44:45], s[6:7]
	s_cbranch_execz .LBB27_13
; %bb.17:                               ;   in Loop: Header=BB27_15 Depth=4
	v_cmp_lt_i32_e64 s[6:7], -1, v22
	v_cmp_gt_i32_e64 s[8:9], s18, v22
	s_and_b64 s[6:7], s[6:7], s[8:9]
	s_and_b64 s[6:7], s[4:5], s[6:7]
	s_and_saveexec_b64 s[8:9], s[6:7]
	s_cbranch_execz .LBB27_12
; %bb.18:                               ;   in Loop: Header=BB27_15 Depth=4
	v_add_u32_e32 v22, v20, v22
	v_ashrrev_i32_e32 v23, 31, v22
	v_lshlrev_b64 v[22:23], 3, v[22:23]
	v_mov_b32_e32 v26, s35
	v_add_co_u32_e64 v22, s[6:7], s34, v22
	v_addc_co_u32_e64 v23, s[6:7], v26, v23, s[6:7]
	global_load_dwordx2 v[24:25], v[6:7], off
	s_nop 0
	global_load_dwordx2 v[22:23], v[22:23], off
	s_waitcnt vmcnt(0)
	v_fma_f64 v[3:4], v[24:25], v[22:23], v[3:4]
	s_branch .LBB27_12
.LBB27_19:
	s_endpgm
	.section	.rodata,"a",@progbits
	.p2align	6, 0x0
	.amdhsa_kernel _ZN2at6native12_GLOBAL__N_132conv_depthwise2d_backward_kernelILi0ELi0EdiEEvN5torch10headeronly6detail27GenericPackedTensorAccessorINS5_14TensorAccessorIN3c108ArrayRefIlEEKT1_Lm3ENS4_16DefaultPtrTraitsEiEENS_6detail16IndexBoundsCheckILm4EiEESC_Lm4ESD_iEENS6_INS7_ISA_SB_Lm3ESD_iEESH_SB_Lm4ESD_iEESI_T2_iiiiiiiiiiiiiii
		.amdhsa_group_segment_fixed_size 0
		.amdhsa_private_segment_fixed_size 0
		.amdhsa_kernarg_size 440
		.amdhsa_user_sgpr_count 6
		.amdhsa_user_sgpr_private_segment_buffer 1
		.amdhsa_user_sgpr_dispatch_ptr 0
		.amdhsa_user_sgpr_queue_ptr 0
		.amdhsa_user_sgpr_kernarg_segment_ptr 1
		.amdhsa_user_sgpr_dispatch_id 0
		.amdhsa_user_sgpr_flat_scratch_init 0
		.amdhsa_user_sgpr_private_segment_size 0
		.amdhsa_uses_dynamic_stack 0
		.amdhsa_system_sgpr_private_segment_wavefront_offset 0
		.amdhsa_system_sgpr_workgroup_id_x 1
		.amdhsa_system_sgpr_workgroup_id_y 0
		.amdhsa_system_sgpr_workgroup_id_z 0
		.amdhsa_system_sgpr_workgroup_info 0
		.amdhsa_system_vgpr_workitem_id 0
		.amdhsa_next_free_vgpr 27
		.amdhsa_next_free_sgpr 60
		.amdhsa_reserve_vcc 1
		.amdhsa_reserve_flat_scratch 0
		.amdhsa_float_round_mode_32 0
		.amdhsa_float_round_mode_16_64 0
		.amdhsa_float_denorm_mode_32 3
		.amdhsa_float_denorm_mode_16_64 3
		.amdhsa_dx10_clamp 1
		.amdhsa_ieee_mode 1
		.amdhsa_fp16_overflow 0
		.amdhsa_exception_fp_ieee_invalid_op 0
		.amdhsa_exception_fp_denorm_src 0
		.amdhsa_exception_fp_ieee_div_zero 0
		.amdhsa_exception_fp_ieee_overflow 0
		.amdhsa_exception_fp_ieee_underflow 0
		.amdhsa_exception_fp_ieee_inexact 0
		.amdhsa_exception_int_div_zero 0
	.end_amdhsa_kernel
	.section	.text._ZN2at6native12_GLOBAL__N_132conv_depthwise2d_backward_kernelILi0ELi0EdiEEvN5torch10headeronly6detail27GenericPackedTensorAccessorINS5_14TensorAccessorIN3c108ArrayRefIlEEKT1_Lm3ENS4_16DefaultPtrTraitsEiEENS_6detail16IndexBoundsCheckILm4EiEESC_Lm4ESD_iEENS6_INS7_ISA_SB_Lm3ESD_iEESH_SB_Lm4ESD_iEESI_T2_iiiiiiiiiiiiiii,"axG",@progbits,_ZN2at6native12_GLOBAL__N_132conv_depthwise2d_backward_kernelILi0ELi0EdiEEvN5torch10headeronly6detail27GenericPackedTensorAccessorINS5_14TensorAccessorIN3c108ArrayRefIlEEKT1_Lm3ENS4_16DefaultPtrTraitsEiEENS_6detail16IndexBoundsCheckILm4EiEESC_Lm4ESD_iEENS6_INS7_ISA_SB_Lm3ESD_iEESH_SB_Lm4ESD_iEESI_T2_iiiiiiiiiiiiiii,comdat
.Lfunc_end27:
	.size	_ZN2at6native12_GLOBAL__N_132conv_depthwise2d_backward_kernelILi0ELi0EdiEEvN5torch10headeronly6detail27GenericPackedTensorAccessorINS5_14TensorAccessorIN3c108ArrayRefIlEEKT1_Lm3ENS4_16DefaultPtrTraitsEiEENS_6detail16IndexBoundsCheckILm4EiEESC_Lm4ESD_iEENS6_INS7_ISA_SB_Lm3ESD_iEESH_SB_Lm4ESD_iEESI_T2_iiiiiiiiiiiiiii, .Lfunc_end27-_ZN2at6native12_GLOBAL__N_132conv_depthwise2d_backward_kernelILi0ELi0EdiEEvN5torch10headeronly6detail27GenericPackedTensorAccessorINS5_14TensorAccessorIN3c108ArrayRefIlEEKT1_Lm3ENS4_16DefaultPtrTraitsEiEENS_6detail16IndexBoundsCheckILm4EiEESC_Lm4ESD_iEENS6_INS7_ISA_SB_Lm3ESD_iEESH_SB_Lm4ESD_iEESI_T2_iiiiiiiiiiiiiii
                                        ; -- End function
	.set _ZN2at6native12_GLOBAL__N_132conv_depthwise2d_backward_kernelILi0ELi0EdiEEvN5torch10headeronly6detail27GenericPackedTensorAccessorINS5_14TensorAccessorIN3c108ArrayRefIlEEKT1_Lm3ENS4_16DefaultPtrTraitsEiEENS_6detail16IndexBoundsCheckILm4EiEESC_Lm4ESD_iEENS6_INS7_ISA_SB_Lm3ESD_iEESH_SB_Lm4ESD_iEESI_T2_iiiiiiiiiiiiiii.num_vgpr, 27
	.set _ZN2at6native12_GLOBAL__N_132conv_depthwise2d_backward_kernelILi0ELi0EdiEEvN5torch10headeronly6detail27GenericPackedTensorAccessorINS5_14TensorAccessorIN3c108ArrayRefIlEEKT1_Lm3ENS4_16DefaultPtrTraitsEiEENS_6detail16IndexBoundsCheckILm4EiEESC_Lm4ESD_iEENS6_INS7_ISA_SB_Lm3ESD_iEESH_SB_Lm4ESD_iEESI_T2_iiiiiiiiiiiiiii.num_agpr, 0
	.set _ZN2at6native12_GLOBAL__N_132conv_depthwise2d_backward_kernelILi0ELi0EdiEEvN5torch10headeronly6detail27GenericPackedTensorAccessorINS5_14TensorAccessorIN3c108ArrayRefIlEEKT1_Lm3ENS4_16DefaultPtrTraitsEiEENS_6detail16IndexBoundsCheckILm4EiEESC_Lm4ESD_iEENS6_INS7_ISA_SB_Lm3ESD_iEESH_SB_Lm4ESD_iEESI_T2_iiiiiiiiiiiiiii.numbered_sgpr, 60
	.set _ZN2at6native12_GLOBAL__N_132conv_depthwise2d_backward_kernelILi0ELi0EdiEEvN5torch10headeronly6detail27GenericPackedTensorAccessorINS5_14TensorAccessorIN3c108ArrayRefIlEEKT1_Lm3ENS4_16DefaultPtrTraitsEiEENS_6detail16IndexBoundsCheckILm4EiEESC_Lm4ESD_iEENS6_INS7_ISA_SB_Lm3ESD_iEESH_SB_Lm4ESD_iEESI_T2_iiiiiiiiiiiiiii.num_named_barrier, 0
	.set _ZN2at6native12_GLOBAL__N_132conv_depthwise2d_backward_kernelILi0ELi0EdiEEvN5torch10headeronly6detail27GenericPackedTensorAccessorINS5_14TensorAccessorIN3c108ArrayRefIlEEKT1_Lm3ENS4_16DefaultPtrTraitsEiEENS_6detail16IndexBoundsCheckILm4EiEESC_Lm4ESD_iEENS6_INS7_ISA_SB_Lm3ESD_iEESH_SB_Lm4ESD_iEESI_T2_iiiiiiiiiiiiiii.private_seg_size, 0
	.set _ZN2at6native12_GLOBAL__N_132conv_depthwise2d_backward_kernelILi0ELi0EdiEEvN5torch10headeronly6detail27GenericPackedTensorAccessorINS5_14TensorAccessorIN3c108ArrayRefIlEEKT1_Lm3ENS4_16DefaultPtrTraitsEiEENS_6detail16IndexBoundsCheckILm4EiEESC_Lm4ESD_iEENS6_INS7_ISA_SB_Lm3ESD_iEESH_SB_Lm4ESD_iEESI_T2_iiiiiiiiiiiiiii.uses_vcc, 1
	.set _ZN2at6native12_GLOBAL__N_132conv_depthwise2d_backward_kernelILi0ELi0EdiEEvN5torch10headeronly6detail27GenericPackedTensorAccessorINS5_14TensorAccessorIN3c108ArrayRefIlEEKT1_Lm3ENS4_16DefaultPtrTraitsEiEENS_6detail16IndexBoundsCheckILm4EiEESC_Lm4ESD_iEENS6_INS7_ISA_SB_Lm3ESD_iEESH_SB_Lm4ESD_iEESI_T2_iiiiiiiiiiiiiii.uses_flat_scratch, 0
	.set _ZN2at6native12_GLOBAL__N_132conv_depthwise2d_backward_kernelILi0ELi0EdiEEvN5torch10headeronly6detail27GenericPackedTensorAccessorINS5_14TensorAccessorIN3c108ArrayRefIlEEKT1_Lm3ENS4_16DefaultPtrTraitsEiEENS_6detail16IndexBoundsCheckILm4EiEESC_Lm4ESD_iEENS6_INS7_ISA_SB_Lm3ESD_iEESH_SB_Lm4ESD_iEESI_T2_iiiiiiiiiiiiiii.has_dyn_sized_stack, 0
	.set _ZN2at6native12_GLOBAL__N_132conv_depthwise2d_backward_kernelILi0ELi0EdiEEvN5torch10headeronly6detail27GenericPackedTensorAccessorINS5_14TensorAccessorIN3c108ArrayRefIlEEKT1_Lm3ENS4_16DefaultPtrTraitsEiEENS_6detail16IndexBoundsCheckILm4EiEESC_Lm4ESD_iEENS6_INS7_ISA_SB_Lm3ESD_iEESH_SB_Lm4ESD_iEESI_T2_iiiiiiiiiiiiiii.has_recursion, 0
	.set _ZN2at6native12_GLOBAL__N_132conv_depthwise2d_backward_kernelILi0ELi0EdiEEvN5torch10headeronly6detail27GenericPackedTensorAccessorINS5_14TensorAccessorIN3c108ArrayRefIlEEKT1_Lm3ENS4_16DefaultPtrTraitsEiEENS_6detail16IndexBoundsCheckILm4EiEESC_Lm4ESD_iEENS6_INS7_ISA_SB_Lm3ESD_iEESH_SB_Lm4ESD_iEESI_T2_iiiiiiiiiiiiiii.has_indirect_call, 0
	.section	.AMDGPU.csdata,"",@progbits
; Kernel info:
; codeLenInByte = 1364
; TotalNumSgprs: 64
; NumVgprs: 27
; ScratchSize: 0
; MemoryBound: 0
; FloatMode: 240
; IeeeMode: 1
; LDSByteSize: 0 bytes/workgroup (compile time only)
; SGPRBlocks: 7
; VGPRBlocks: 6
; NumSGPRsForWavesPerEU: 64
; NumVGPRsForWavesPerEU: 27
; Occupancy: 9
; WaveLimiterHint : 0
; COMPUTE_PGM_RSRC2:SCRATCH_EN: 0
; COMPUTE_PGM_RSRC2:USER_SGPR: 6
; COMPUTE_PGM_RSRC2:TRAP_HANDLER: 0
; COMPUTE_PGM_RSRC2:TGID_X_EN: 1
; COMPUTE_PGM_RSRC2:TGID_Y_EN: 0
; COMPUTE_PGM_RSRC2:TGID_Z_EN: 0
; COMPUTE_PGM_RSRC2:TIDIG_COMP_CNT: 0
	.section	.text._ZN2at6native12_GLOBAL__N_132conv_depthwise2d_backward_kernelILi5ELi1EfiEEvN5torch10headeronly6detail27GenericPackedTensorAccessorINS5_14TensorAccessorIN3c108ArrayRefIlEEKT1_Lm3ENS4_16DefaultPtrTraitsEiEENS_6detail16IndexBoundsCheckILm4EiEESC_Lm4ESD_iEENS6_INS7_ISA_SB_Lm3ESD_iEESH_SB_Lm4ESD_iEESI_T2_iiiiiiiiiiiiiii,"axG",@progbits,_ZN2at6native12_GLOBAL__N_132conv_depthwise2d_backward_kernelILi5ELi1EfiEEvN5torch10headeronly6detail27GenericPackedTensorAccessorINS5_14TensorAccessorIN3c108ArrayRefIlEEKT1_Lm3ENS4_16DefaultPtrTraitsEiEENS_6detail16IndexBoundsCheckILm4EiEESC_Lm4ESD_iEENS6_INS7_ISA_SB_Lm3ESD_iEESH_SB_Lm4ESD_iEESI_T2_iiiiiiiiiiiiiii,comdat
	.globl	_ZN2at6native12_GLOBAL__N_132conv_depthwise2d_backward_kernelILi5ELi1EfiEEvN5torch10headeronly6detail27GenericPackedTensorAccessorINS5_14TensorAccessorIN3c108ArrayRefIlEEKT1_Lm3ENS4_16DefaultPtrTraitsEiEENS_6detail16IndexBoundsCheckILm4EiEESC_Lm4ESD_iEENS6_INS7_ISA_SB_Lm3ESD_iEESH_SB_Lm4ESD_iEESI_T2_iiiiiiiiiiiiiii ; -- Begin function _ZN2at6native12_GLOBAL__N_132conv_depthwise2d_backward_kernelILi5ELi1EfiEEvN5torch10headeronly6detail27GenericPackedTensorAccessorINS5_14TensorAccessorIN3c108ArrayRefIlEEKT1_Lm3ENS4_16DefaultPtrTraitsEiEENS_6detail16IndexBoundsCheckILm4EiEESC_Lm4ESD_iEENS6_INS7_ISA_SB_Lm3ESD_iEESH_SB_Lm4ESD_iEESI_T2_iiiiiiiiiiiiiii
	.p2align	8
	.type	_ZN2at6native12_GLOBAL__N_132conv_depthwise2d_backward_kernelILi5ELi1EfiEEvN5torch10headeronly6detail27GenericPackedTensorAccessorINS5_14TensorAccessorIN3c108ArrayRefIlEEKT1_Lm3ENS4_16DefaultPtrTraitsEiEENS_6detail16IndexBoundsCheckILm4EiEESC_Lm4ESD_iEENS6_INS7_ISA_SB_Lm3ESD_iEESH_SB_Lm4ESD_iEESI_T2_iiiiiiiiiiiiiii,@function
_ZN2at6native12_GLOBAL__N_132conv_depthwise2d_backward_kernelILi5ELi1EfiEEvN5torch10headeronly6detail27GenericPackedTensorAccessorINS5_14TensorAccessorIN3c108ArrayRefIlEEKT1_Lm3ENS4_16DefaultPtrTraitsEiEENS_6detail16IndexBoundsCheckILm4EiEESC_Lm4ESD_iEENS6_INS7_ISA_SB_Lm3ESD_iEESH_SB_Lm4ESD_iEESI_T2_iiiiiiiiiiiiiii: ; @_ZN2at6native12_GLOBAL__N_132conv_depthwise2d_backward_kernelILi5ELi1EfiEEvN5torch10headeronly6detail27GenericPackedTensorAccessorINS5_14TensorAccessorIN3c108ArrayRefIlEEKT1_Lm3ENS4_16DefaultPtrTraitsEiEENS_6detail16IndexBoundsCheckILm4EiEESC_Lm4ESD_iEENS6_INS7_ISA_SB_Lm3ESD_iEESH_SB_Lm4ESD_iEESI_T2_iiiiiiiiiiiiiii
; %bb.0:
	s_load_dword s2, s[4:5], 0xc4
	s_load_dwordx8 s[20:27], s[4:5], 0x78
	s_add_u32 s0, s4, 0xb8
	s_addc_u32 s1, s5, 0
	v_mov_b32_e32 v1, 0
	s_waitcnt lgkmcnt(0)
	s_and_b32 s2, s2, 0xffff
	v_mov_b32_e32 v2, s6
	v_mad_u64_u32 v[1:2], s[8:9], s2, v2, v[0:1]
	s_ashr_i32 s19, s20, 31
	s_mov_b32 s18, s20
	v_cmp_gt_i64_e32 vcc, s[18:19], v[1:2]
	s_and_saveexec_b64 s[8:9], vcc
	s_cbranch_execz .LBB28_57
; %bb.1:
	s_cmp_gt_i32 s22, 0
	s_cselect_b64 s[8:9], -1, 0
	s_abs_i32 s20, s24
	v_cvt_f32_u32_e32 v3, s20
	s_abs_i32 s33, s25
	v_cvt_f32_u32_e32 v4, s33
	;; [unrolled: 2-line block ×3, first 2 shown]
	v_rcp_iflag_f32_e32 v3, v3
	v_rcp_iflag_f32_e32 v4, v4
	s_load_dwordx2 s[10:11], s[4:5], 0x98
	s_load_dwordx2 s[34:35], s[4:5], 0x0
	;; [unrolled: 1-line block ×4, first 2 shown]
	s_load_dword s3, s[0:1], 0x0
	v_rcp_iflag_f32_e32 v5, v5
	v_mul_f32_e32 v3, 0x4f7ffffe, v3
	v_cvt_u32_f32_e32 v3, v3
	v_mul_f32_e32 v4, 0x4f7ffffe, v4
	v_cvt_u32_f32_e32 v4, v4
	;; [unrolled: 2-line block ×3, first 2 shown]
	s_sub_i32 s0, 0, s20
	v_mul_lo_u32 v6, s0, v3
	s_sub_i32 s0, 0, s33
	s_load_dwordx4 s[28:31], s[4:5], 0xa8
	v_mul_lo_u32 v5, s0, v4
	s_sub_i32 s0, 0, s78
	v_mul_lo_u32 v8, s0, v7
	s_ashr_i32 s0, s24, 31
                                        ; implicit-def: $vgpr43 : SGPR spill to VGPR lane
	v_mul_hi_u32 v6, v3, v6
	v_writelane_b32 v43, s0, 0
	s_ashr_i32 s0, s25, 31
	v_writelane_b32 v43, s0, 1
	s_ashr_i32 s0, s21, 31
	v_writelane_b32 v43, s0, 2
	s_mul_i32 s0, s6, s2
	v_mul_hi_u32 v9, v4, v5
	s_waitcnt lgkmcnt(0)
	s_add_i32 s0, s0, s28
	v_add_u32_e32 v0, s0, v0
	s_lshl_b32 s0, s30, 2
	v_add_u32_e32 v5, v3, v6
	v_mul_hi_u32 v3, v7, v8
	v_subrev_u32_e32 v8, s0, v0
	s_lshl_b32 s0, s31, 2
	s_sub_i32 s86, s29, s0
	s_mul_i32 s0, s30, 3
	v_add_u32_e32 v6, v4, v9
	v_subrev_u32_e32 v9, s0, v0
	s_lshl_b32 s0, s30, 1
	v_subrev_u32_e32 v10, s0, v0
	s_mul_i32 s0, s31, 3
	v_add_u32_e32 v7, v7, v3
	s_sub_i32 s88, s29, s0
	s_lshl_b32 s0, s31, 1
	v_cndmask_b32_e64 v3, 0, 1, s[8:9]
	s_mul_i32 s79, s3, s2
	s_mul_i32 s83, s11, s10
	s_sub_i32 s82, 0, s24
	s_mul_i32 s87, s27, s26
	v_subrev_u32_e32 v11, s30, v0
	s_sub_i32 s89, s29, s0
	s_sub_i32 s90, s29, s31
	s_mov_b64 s[40:41], 0
	v_cmp_ne_u32_e64 s[0:1], 1, v3
	s_branch .LBB28_4
.LBB28_2:                               ;   in Loop: Header=BB28_4 Depth=1
	v_mov_b32_e32 v37, 0
.LBB28_3:                               ;   in Loop: Header=BB28_4 Depth=1
	v_lshlrev_b64 v[3:4], 2, v[1:2]
	v_mov_b32_e32 v12, s37
	v_add_co_u32_e32 v3, vcc, s36, v3
	v_addc_co_u32_e32 v4, vcc, v12, v4, vcc
	v_add_co_u32_e32 v1, vcc, s79, v1
	v_addc_co_u32_e32 v2, vcc, 0, v2, vcc
	v_cmp_le_i64_e32 vcc, s[18:19], v[1:2]
	v_add_u32_e32 v8, s79, v8
	v_add_u32_e32 v9, s79, v9
	;; [unrolled: 1-line block ×4, first 2 shown]
	s_or_b64 s[40:41], vcc, s[40:41]
	v_add_u32_e32 v0, s79, v0
	global_store_dword v[3:4], v37, off
	s_andn2_b64 exec, exec, s[40:41]
	s_cbranch_execz .LBB28_57
.LBB28_4:                               ; =>This Loop Header: Depth=1
                                        ;     Child Loop BB28_7 Depth 2
	s_and_b64 vcc, exec, s[0:1]
	s_cbranch_vccnz .LBB28_2
; %bb.5:                                ;   in Loop: Header=BB28_4 Depth=1
	v_sub_u32_e32 v3, 0, v1
	v_max_i32_e32 v4, v1, v3
	v_mul_hi_u32 v12, v4, v5
	v_ashrrev_i32_e32 v3, 31, v1
	v_readlane_b32 s2, v43, 0
	v_xor_b32_e32 v3, s2, v3
	v_mul_lo_u32 v13, v12, s20
	v_add_u32_e32 v14, 1, v12
	v_readlane_b32 s2, v43, 1
	s_mov_b32 s91, s22
	v_sub_u32_e32 v4, v4, v13
	v_cmp_le_u32_e32 vcc, s20, v4
	v_subrev_u32_e32 v13, s20, v4
	v_cndmask_b32_e32 v12, v12, v14, vcc
	v_cndmask_b32_e32 v4, v4, v13, vcc
	v_add_u32_e32 v13, 1, v12
	v_cmp_le_u32_e32 vcc, s20, v4
	v_cndmask_b32_e32 v4, v12, v13, vcc
	v_xor_b32_e32 v25, v4, v3
	v_sub_u32_e32 v4, v25, v3
	v_sub_u32_e32 v12, 0, v4
	v_max_i32_e32 v12, v4, v12
	v_mul_hi_u32 v13, v12, v6
	v_ashrrev_i32_e32 v15, 31, v4
	v_xor_b32_e32 v15, s2, v15
	v_mul_lo_u32 v29, s82, v4
	v_mul_lo_u32 v14, v13, s33
	v_add_u32_e32 v16, 1, v13
	v_sub_u32_e32 v12, v12, v14
	v_cmp_le_u32_e32 vcc, s33, v12
	v_subrev_u32_e32 v14, s33, v12
	v_cndmask_b32_e32 v13, v13, v16, vcc
	v_cndmask_b32_e32 v12, v12, v14, vcc
	v_add_u32_e32 v14, 1, v13
	v_cmp_le_u32_e32 vcc, s33, v12
	v_cndmask_b32_e32 v12, v13, v14, vcc
	v_xor_b32_e32 v12, v12, v15
	v_sub_u32_e32 v12, v12, v15
	v_sub_u32_e32 v13, 0, v12
	v_max_i32_e32 v13, v12, v13
	v_mul_hi_u32 v14, v13, v7
	v_mul_lo_u32 v26, v12, s25
	v_mul_lo_u32 v15, v14, s78
	v_add_u32_e32 v16, 1, v14
	v_sub_u32_e32 v13, v13, v15
	v_cmp_le_u32_e32 vcc, s78, v13
	v_subrev_u32_e32 v15, s78, v13
	v_cndmask_b32_e32 v14, v14, v16, vcc
	v_cndmask_b32_e32 v13, v13, v15, vcc
	v_add_u32_e32 v15, 1, v14
	v_cmp_le_u32_e32 vcc, s78, v13
	v_cndmask_b32_e32 v13, v14, v15, vcc
	v_mul_lo_u32 v14, v4, s24
	v_add_u32_e32 v16, s28, v1
	v_add_u32_e32 v15, s29, v4
	v_sub_u32_e32 v17, v16, v14
	v_add_u32_e32 v14, s30, v14
	v_cmp_lt_i32_e32 vcc, -1, v17
	v_cmp_gt_i32_e64 s[2:3], s26, v17
	v_sub_u32_e32 v17, v16, v14
	v_add_u32_e32 v14, s30, v14
	v_cmp_lt_i32_e64 s[4:5], -1, v17
	v_cmp_gt_i32_e64 s[6:7], s26, v17
	v_sub_u32_e32 v17, v16, v14
	v_add_u32_e32 v14, s30, v14
	v_cmp_lt_i32_e64 s[8:9], -1, v17
	v_cmp_gt_i32_e64 s[10:11], s26, v17
	v_sub_u32_e32 v17, v16, v14
	v_add_u32_e32 v14, s30, v14
	v_sub_u32_e32 v14, v16, v14
	s_and_b64 s[42:43], vcc, s[2:3]
	v_cmp_lt_i32_e32 vcc, -1, v14
	v_cmp_gt_i32_e64 s[2:3], s26, v14
	v_add_u32_e32 v14, s31, v26
	v_cmp_lt_i32_e64 s[12:13], -1, v17
	v_cmp_gt_i32_e64 s[14:15], s26, v17
	v_sub_u32_e32 v16, v15, v14
	v_add_u32_e32 v14, s31, v14
	s_and_b64 s[4:5], s[4:5], s[6:7]
	s_and_b64 s[8:9], s[8:9], s[10:11]
	;; [unrolled: 1-line block ×3, first 2 shown]
	s_and_b64 s[2:3], vcc, s[2:3]
	v_cmp_gt_i32_e32 vcc, s27, v16
	v_sub_u32_e32 v18, v15, v14
	v_add_u32_e32 v14, s31, v14
	s_and_b64 s[46:47], vcc, s[42:43]
	s_and_b64 s[48:49], vcc, s[4:5]
	;; [unrolled: 1-line block ×5, first 2 shown]
	v_cmp_gt_i32_e32 vcc, s27, v18
	v_sub_u32_e32 v19, v15, v14
	v_add_u32_e32 v14, s31, v14
	v_sub_u32_e32 v17, v15, v26
	s_and_b64 s[56:57], vcc, s[42:43]
	s_and_b64 s[58:59], vcc, s[4:5]
	;; [unrolled: 1-line block ×5, first 2 shown]
	v_cmp_gt_i32_e32 vcc, s27, v19
	v_sub_u32_e32 v14, v15, v14
	v_cmp_gt_i32_e64 s[16:17], s27, v17
	s_and_b64 s[66:67], vcc, s[42:43]
	s_and_b64 s[68:69], vcc, s[4:5]
	;; [unrolled: 1-line block ×5, first 2 shown]
	v_cmp_gt_i32_e32 vcc, s27, v14
	s_and_b64 s[14:15], s[16:17], s[12:13]
	s_and_b64 s[80:81], vcc, s[12:13]
	s_xor_b64 s[12:13], s[46:47], -1
	s_xor_b64 s[46:47], s[56:57], -1
	;; [unrolled: 1-line block ×3, first 2 shown]
	v_ashrrev_i32_e32 v15, 31, v12
	v_readlane_b32 s66, v43, 2
	v_xor_b32_e32 v15, s66, v15
	v_xor_b32_e32 v13, v13, v15
	v_sub_u32_e32 v13, v13, v15
	v_mul_lo_u32 v15, v13, s21
	v_mul_lo_u32 v13, v13, s23
	s_and_b64 s[10:11], s[16:17], s[8:9]
	s_and_b64 s[94:95], vcc, s[8:9]
	v_sub_u32_e32 v37, v12, v15
	s_xor_b64 s[8:9], s[14:15], -1
	s_xor_b64 s[14:15], s[48:49], -1
	;; [unrolled: 1-line block ×4, first 2 shown]
	v_mad_u64_u32 v[12:13], s[68:69], v37, s22, v[13:14]
	s_and_b64 s[76:77], vcc, s[42:43]
	s_and_b64 s[92:93], vcc, s[4:5]
	v_mul_lo_u32 v27, s27, v12
	s_and_b64 s[84:85], vcc, s[2:3]
	v_cmp_gt_i32_e32 vcc, 0, v17
	s_and_b64 s[44:45], s[16:17], s[42:43]
	v_add3_u32 v12, s86, v25, v27
	v_add3_u32 v13, s88, v25, v27
	;; [unrolled: 1-line block ×5, first 2 shown]
	s_and_b64 s[6:7], s[16:17], s[4:5]
	s_and_b64 s[16:17], s[16:17], s[2:3]
	v_sub_u32_e32 v12, v12, v26
	v_sub_u32_e32 v13, v13, v26
	v_sub_u32_e32 v17, v17, v26
	v_sub_u32_e32 v21, v21, v26
	v_sub_u32_e32 v25, v25, v26
	s_xor_b64 s[2:3], s[44:45], -1
	s_xor_b64 s[4:5], s[6:7], -1
	;; [unrolled: 1-line block ×4, first 2 shown]
	v_sub_u32_e32 v12, v12, v3
	v_sub_u32_e32 v13, v13, v3
	;; [unrolled: 1-line block ×5, first 2 shown]
	s_nor_b64 s[2:3], vcc, s[2:3]
	s_nor_b64 s[4:5], vcc, s[4:5]
	s_nor_b64 s[6:7], vcc, s[6:7]
	s_nor_b64 s[8:9], vcc, s[8:9]
	s_nor_b64 s[10:11], vcc, s[10:11]
	v_cmp_gt_i32_e32 vcc, 0, v16
	s_xor_b64 s[16:17], s[50:51], -1
	s_xor_b64 s[42:43], s[52:53], -1
	;; [unrolled: 1-line block ×4, first 2 shown]
	v_mul_lo_u32 v30, s26, v12
	v_mul_lo_u32 v31, s26, v13
	;; [unrolled: 1-line block ×5, first 2 shown]
	s_mul_i32 s76, s83, s22
	s_nor_b64 s[12:13], vcc, s[12:13]
	s_nor_b64 s[14:15], vcc, s[14:15]
	;; [unrolled: 1-line block ×5, first 2 shown]
	v_cmp_gt_i32_e32 vcc, 0, v18
	s_xor_b64 s[50:51], s[60:61], -1
	s_xor_b64 s[52:53], s[62:63], -1
	;; [unrolled: 1-line block ×3, first 2 shown]
	v_mul_lo_u32 v3, s76, v37
	s_nor_b64 s[46:47], vcc, s[46:47]
	s_nor_b64 s[48:49], vcc, s[48:49]
	;; [unrolled: 1-line block ×5, first 2 shown]
	v_cmp_gt_i32_e32 vcc, 0, v19
	s_xor_b64 s[60:61], s[70:71], -1
	s_xor_b64 s[62:63], s[72:73], -1
	;; [unrolled: 1-line block ×3, first 2 shown]
	s_nor_b64 s[56:57], vcc, s[56:57]
	s_nor_b64 s[58:59], vcc, s[58:59]
	;; [unrolled: 1-line block ×5, first 2 shown]
	v_cmp_gt_i32_e32 vcc, 0, v14
	s_xor_b64 s[68:69], s[92:93], -1
	s_xor_b64 s[70:71], s[94:95], -1
	;; [unrolled: 1-line block ×4, first 2 shown]
	s_nor_b64 s[66:67], vcc, s[66:67]
	s_nor_b64 s[68:69], vcc, s[68:69]
	;; [unrolled: 1-line block ×5, first 2 shown]
	v_add_u32_e32 v12, v8, v30
	v_add_u32_e32 v13, v9, v30
	;; [unrolled: 1-line block ×25, first 2 shown]
	v_mov_b32_e32 v37, 0
	s_branch .LBB28_7
.LBB28_6:                               ;   in Loop: Header=BB28_7 Depth=2
	s_or_b64 exec, exec, s[76:77]
	s_add_i32 s91, s91, -1
	v_add_u32_e32 v3, s83, v3
	v_add_u32_e32 v12, s87, v12
	v_add_u32_e32 v13, s87, v13
	v_add_u32_e32 v14, s87, v14
	v_add_u32_e32 v15, s87, v15
	v_add_u32_e32 v30, s87, v30
	v_add_u32_e32 v16, s87, v16
	v_add_u32_e32 v17, s87, v17
	v_add_u32_e32 v18, s87, v18
	v_add_u32_e32 v19, s87, v19
	v_add_u32_e32 v31, s87, v31
	v_add_u32_e32 v20, s87, v20
	v_add_u32_e32 v21, s87, v21
	v_add_u32_e32 v22, s87, v22
	v_add_u32_e32 v23, s87, v23
	v_add_u32_e32 v32, s87, v32
	v_add_u32_e32 v24, s87, v24
	v_add_u32_e32 v25, s87, v25
	v_add_u32_e32 v26, s87, v26
	v_add_u32_e32 v27, s87, v27
	v_add_u32_e32 v33, s87, v33
	v_add_u32_e32 v28, s87, v28
	v_add_u32_e32 v34, s87, v34
	v_add_u32_e32 v35, s87, v35
	v_add_u32_e32 v36, s87, v36
	s_cmp_eq_u32 s91, 0
	v_add_u32_e32 v38, s87, v38
	s_cbranch_scc1 .LBB28_3
.LBB28_7:                               ;   Parent Loop BB28_4 Depth=1
                                        ; =>  This Inner Loop Header: Depth=2
	v_ashrrev_i32_e32 v4, 31, v3
	s_and_saveexec_b64 s[76:77], s[2:3]
	s_cbranch_execnz .LBB28_32
; %bb.8:                                ;   in Loop: Header=BB28_7 Depth=2
	s_or_b64 exec, exec, s[76:77]
	s_and_saveexec_b64 s[76:77], s[4:5]
	s_cbranch_execnz .LBB28_33
.LBB28_9:                               ;   in Loop: Header=BB28_7 Depth=2
	s_or_b64 exec, exec, s[76:77]
	s_and_saveexec_b64 s[76:77], s[6:7]
	s_cbranch_execnz .LBB28_34
.LBB28_10:                              ;   in Loop: Header=BB28_7 Depth=2
	s_or_b64 exec, exec, s[76:77]
	s_and_saveexec_b64 s[76:77], s[8:9]
	s_cbranch_execnz .LBB28_35
.LBB28_11:                              ;   in Loop: Header=BB28_7 Depth=2
	s_or_b64 exec, exec, s[76:77]
	s_and_saveexec_b64 s[76:77], s[10:11]
	s_cbranch_execnz .LBB28_36
.LBB28_12:                              ;   in Loop: Header=BB28_7 Depth=2
	s_or_b64 exec, exec, s[76:77]
	s_and_saveexec_b64 s[76:77], s[12:13]
	s_cbranch_execnz .LBB28_37
.LBB28_13:                              ;   in Loop: Header=BB28_7 Depth=2
	s_or_b64 exec, exec, s[76:77]
	s_and_saveexec_b64 s[76:77], s[14:15]
	s_cbranch_execnz .LBB28_38
.LBB28_14:                              ;   in Loop: Header=BB28_7 Depth=2
	s_or_b64 exec, exec, s[76:77]
	s_and_saveexec_b64 s[76:77], s[16:17]
	s_cbranch_execnz .LBB28_39
.LBB28_15:                              ;   in Loop: Header=BB28_7 Depth=2
	s_or_b64 exec, exec, s[76:77]
	s_and_saveexec_b64 s[76:77], s[42:43]
	s_cbranch_execnz .LBB28_40
.LBB28_16:                              ;   in Loop: Header=BB28_7 Depth=2
	s_or_b64 exec, exec, s[76:77]
	s_and_saveexec_b64 s[76:77], s[44:45]
	s_cbranch_execnz .LBB28_41
.LBB28_17:                              ;   in Loop: Header=BB28_7 Depth=2
	s_or_b64 exec, exec, s[76:77]
	s_and_saveexec_b64 s[76:77], s[46:47]
	s_cbranch_execnz .LBB28_42
.LBB28_18:                              ;   in Loop: Header=BB28_7 Depth=2
	s_or_b64 exec, exec, s[76:77]
	s_and_saveexec_b64 s[76:77], s[48:49]
	s_cbranch_execnz .LBB28_43
.LBB28_19:                              ;   in Loop: Header=BB28_7 Depth=2
	s_or_b64 exec, exec, s[76:77]
	s_and_saveexec_b64 s[76:77], s[50:51]
	s_cbranch_execnz .LBB28_44
.LBB28_20:                              ;   in Loop: Header=BB28_7 Depth=2
	s_or_b64 exec, exec, s[76:77]
	s_and_saveexec_b64 s[76:77], s[52:53]
	s_cbranch_execnz .LBB28_45
.LBB28_21:                              ;   in Loop: Header=BB28_7 Depth=2
	s_or_b64 exec, exec, s[76:77]
	s_and_saveexec_b64 s[76:77], s[54:55]
	s_cbranch_execnz .LBB28_46
.LBB28_22:                              ;   in Loop: Header=BB28_7 Depth=2
	s_or_b64 exec, exec, s[76:77]
	s_and_saveexec_b64 s[76:77], s[56:57]
	s_cbranch_execnz .LBB28_47
.LBB28_23:                              ;   in Loop: Header=BB28_7 Depth=2
	s_or_b64 exec, exec, s[76:77]
	s_and_saveexec_b64 s[76:77], s[58:59]
	s_cbranch_execnz .LBB28_48
.LBB28_24:                              ;   in Loop: Header=BB28_7 Depth=2
	s_or_b64 exec, exec, s[76:77]
	s_and_saveexec_b64 s[76:77], s[60:61]
	s_cbranch_execnz .LBB28_49
.LBB28_25:                              ;   in Loop: Header=BB28_7 Depth=2
	s_or_b64 exec, exec, s[76:77]
	s_and_saveexec_b64 s[76:77], s[62:63]
	s_cbranch_execnz .LBB28_50
.LBB28_26:                              ;   in Loop: Header=BB28_7 Depth=2
	s_or_b64 exec, exec, s[76:77]
	s_and_saveexec_b64 s[76:77], s[64:65]
	s_cbranch_execnz .LBB28_51
.LBB28_27:                              ;   in Loop: Header=BB28_7 Depth=2
	s_or_b64 exec, exec, s[76:77]
	s_and_saveexec_b64 s[76:77], s[66:67]
	s_cbranch_execnz .LBB28_52
.LBB28_28:                              ;   in Loop: Header=BB28_7 Depth=2
	s_or_b64 exec, exec, s[76:77]
	s_and_saveexec_b64 s[76:77], s[68:69]
	s_cbranch_execnz .LBB28_53
.LBB28_29:                              ;   in Loop: Header=BB28_7 Depth=2
	s_or_b64 exec, exec, s[76:77]
	s_and_saveexec_b64 s[76:77], s[70:71]
	s_cbranch_execnz .LBB28_54
.LBB28_30:                              ;   in Loop: Header=BB28_7 Depth=2
	s_or_b64 exec, exec, s[76:77]
	s_and_saveexec_b64 s[76:77], s[72:73]
	s_cbranch_execnz .LBB28_55
.LBB28_31:                              ;   in Loop: Header=BB28_7 Depth=2
	s_or_b64 exec, exec, s[76:77]
	s_and_saveexec_b64 s[76:77], s[74:75]
	s_cbranch_execz .LBB28_6
	s_branch .LBB28_56
.LBB28_32:                              ;   in Loop: Header=BB28_7 Depth=2
	v_lshlrev_b64 v[40:41], 2, v[3:4]
	v_mov_b32_e32 v42, s39
	v_add_co_u32_e32 v40, vcc, s38, v40
	v_add_u32_e32 v39, v29, v38
	v_addc_co_u32_e32 v41, vcc, v42, v41, vcc
	global_load_dword v41, v[40:41], off
	v_ashrrev_i32_e32 v40, 31, v39
	v_lshlrev_b64 v[39:40], 2, v[39:40]
	v_mov_b32_e32 v42, s35
	v_add_co_u32_e32 v39, vcc, s34, v39
	v_addc_co_u32_e32 v40, vcc, v42, v40, vcc
	global_load_dword v39, v[39:40], off
	s_waitcnt vmcnt(0)
	v_fmac_f32_e32 v37, v41, v39
	s_or_b64 exec, exec, s[76:77]
	s_and_saveexec_b64 s[76:77], s[4:5]
	s_cbranch_execz .LBB28_9
.LBB28_33:                              ;   in Loop: Header=BB28_7 Depth=2
	v_lshlrev_b64 v[40:41], 2, v[3:4]
	v_mov_b32_e32 v42, s39
	v_add_co_u32_e32 v40, vcc, s38, v40
	v_add_u32_e32 v39, v29, v36
	v_addc_co_u32_e32 v41, vcc, v42, v41, vcc
	global_load_dword v41, v[40:41], off offset:4
	v_ashrrev_i32_e32 v40, 31, v39
	v_lshlrev_b64 v[39:40], 2, v[39:40]
	v_mov_b32_e32 v42, s35
	v_add_co_u32_e32 v39, vcc, s34, v39
	v_addc_co_u32_e32 v40, vcc, v42, v40, vcc
	global_load_dword v39, v[39:40], off
	s_waitcnt vmcnt(0)
	v_fmac_f32_e32 v37, v41, v39
	s_or_b64 exec, exec, s[76:77]
	s_and_saveexec_b64 s[76:77], s[6:7]
	s_cbranch_execz .LBB28_10
.LBB28_34:                              ;   in Loop: Header=BB28_7 Depth=2
	v_lshlrev_b64 v[40:41], 2, v[3:4]
	v_mov_b32_e32 v42, s39
	v_add_co_u32_e32 v40, vcc, s38, v40
	v_add_u32_e32 v39, v29, v35
	v_addc_co_u32_e32 v41, vcc, v42, v41, vcc
	global_load_dword v41, v[40:41], off offset:8
	v_ashrrev_i32_e32 v40, 31, v39
	v_lshlrev_b64 v[39:40], 2, v[39:40]
	v_mov_b32_e32 v42, s35
	v_add_co_u32_e32 v39, vcc, s34, v39
	v_addc_co_u32_e32 v40, vcc, v42, v40, vcc
	global_load_dword v39, v[39:40], off
	s_waitcnt vmcnt(0)
	v_fmac_f32_e32 v37, v41, v39
	s_or_b64 exec, exec, s[76:77]
	s_and_saveexec_b64 s[76:77], s[8:9]
	s_cbranch_execz .LBB28_11
.LBB28_35:                              ;   in Loop: Header=BB28_7 Depth=2
	v_lshlrev_b64 v[40:41], 2, v[3:4]
	v_mov_b32_e32 v42, s39
	v_add_co_u32_e32 v40, vcc, s38, v40
	v_add_u32_e32 v39, v29, v34
	v_addc_co_u32_e32 v41, vcc, v42, v41, vcc
	global_load_dword v41, v[40:41], off offset:12
	v_ashrrev_i32_e32 v40, 31, v39
	v_lshlrev_b64 v[39:40], 2, v[39:40]
	v_mov_b32_e32 v42, s35
	v_add_co_u32_e32 v39, vcc, s34, v39
	v_addc_co_u32_e32 v40, vcc, v42, v40, vcc
	global_load_dword v39, v[39:40], off
	s_waitcnt vmcnt(0)
	v_fmac_f32_e32 v37, v41, v39
	s_or_b64 exec, exec, s[76:77]
	s_and_saveexec_b64 s[76:77], s[10:11]
	s_cbranch_execz .LBB28_12
.LBB28_36:                              ;   in Loop: Header=BB28_7 Depth=2
	v_lshlrev_b64 v[40:41], 2, v[3:4]
	v_mov_b32_e32 v42, s39
	v_add_co_u32_e32 v40, vcc, s38, v40
	v_add_u32_e32 v39, v29, v28
	v_addc_co_u32_e32 v41, vcc, v42, v41, vcc
	global_load_dword v41, v[40:41], off offset:16
	v_ashrrev_i32_e32 v40, 31, v39
	v_lshlrev_b64 v[39:40], 2, v[39:40]
	v_mov_b32_e32 v42, s35
	v_add_co_u32_e32 v39, vcc, s34, v39
	v_addc_co_u32_e32 v40, vcc, v42, v40, vcc
	global_load_dword v39, v[39:40], off
	s_waitcnt vmcnt(0)
	v_fmac_f32_e32 v37, v41, v39
	s_or_b64 exec, exec, s[76:77]
	s_and_saveexec_b64 s[76:77], s[12:13]
	s_cbranch_execz .LBB28_13
.LBB28_37:                              ;   in Loop: Header=BB28_7 Depth=2
	v_lshlrev_b64 v[40:41], 2, v[3:4]
	v_mov_b32_e32 v42, s39
	v_add_co_u32_e32 v40, vcc, s38, v40
	v_add_u32_e32 v39, v29, v33
	v_addc_co_u32_e32 v41, vcc, v42, v41, vcc
	global_load_dword v41, v[40:41], off offset:20
	v_ashrrev_i32_e32 v40, 31, v39
	v_lshlrev_b64 v[39:40], 2, v[39:40]
	v_mov_b32_e32 v42, s35
	v_add_co_u32_e32 v39, vcc, s34, v39
	v_addc_co_u32_e32 v40, vcc, v42, v40, vcc
	global_load_dword v39, v[39:40], off
	s_waitcnt vmcnt(0)
	v_fmac_f32_e32 v37, v41, v39
	s_or_b64 exec, exec, s[76:77]
	s_and_saveexec_b64 s[76:77], s[14:15]
	s_cbranch_execz .LBB28_14
.LBB28_38:                              ;   in Loop: Header=BB28_7 Depth=2
	v_lshlrev_b64 v[40:41], 2, v[3:4]
	v_mov_b32_e32 v42, s39
	v_add_co_u32_e32 v40, vcc, s38, v40
	v_add_u32_e32 v39, v29, v27
	v_addc_co_u32_e32 v41, vcc, v42, v41, vcc
	global_load_dword v41, v[40:41], off offset:24
	v_ashrrev_i32_e32 v40, 31, v39
	v_lshlrev_b64 v[39:40], 2, v[39:40]
	v_mov_b32_e32 v42, s35
	v_add_co_u32_e32 v39, vcc, s34, v39
	v_addc_co_u32_e32 v40, vcc, v42, v40, vcc
	global_load_dword v39, v[39:40], off
	s_waitcnt vmcnt(0)
	v_fmac_f32_e32 v37, v41, v39
	s_or_b64 exec, exec, s[76:77]
	s_and_saveexec_b64 s[76:77], s[16:17]
	s_cbranch_execz .LBB28_15
.LBB28_39:                              ;   in Loop: Header=BB28_7 Depth=2
	v_lshlrev_b64 v[40:41], 2, v[3:4]
	v_mov_b32_e32 v42, s39
	v_add_co_u32_e32 v40, vcc, s38, v40
	v_add_u32_e32 v39, v29, v26
	v_addc_co_u32_e32 v41, vcc, v42, v41, vcc
	global_load_dword v41, v[40:41], off offset:28
	v_ashrrev_i32_e32 v40, 31, v39
	v_lshlrev_b64 v[39:40], 2, v[39:40]
	v_mov_b32_e32 v42, s35
	v_add_co_u32_e32 v39, vcc, s34, v39
	v_addc_co_u32_e32 v40, vcc, v42, v40, vcc
	global_load_dword v39, v[39:40], off
	s_waitcnt vmcnt(0)
	v_fmac_f32_e32 v37, v41, v39
	s_or_b64 exec, exec, s[76:77]
	s_and_saveexec_b64 s[76:77], s[42:43]
	s_cbranch_execz .LBB28_16
.LBB28_40:                              ;   in Loop: Header=BB28_7 Depth=2
	v_lshlrev_b64 v[40:41], 2, v[3:4]
	v_mov_b32_e32 v42, s39
	v_add_co_u32_e32 v40, vcc, s38, v40
	v_add_u32_e32 v39, v29, v25
	v_addc_co_u32_e32 v41, vcc, v42, v41, vcc
	global_load_dword v41, v[40:41], off offset:32
	v_ashrrev_i32_e32 v40, 31, v39
	v_lshlrev_b64 v[39:40], 2, v[39:40]
	v_mov_b32_e32 v42, s35
	v_add_co_u32_e32 v39, vcc, s34, v39
	v_addc_co_u32_e32 v40, vcc, v42, v40, vcc
	global_load_dword v39, v[39:40], off
	s_waitcnt vmcnt(0)
	v_fmac_f32_e32 v37, v41, v39
	s_or_b64 exec, exec, s[76:77]
	s_and_saveexec_b64 s[76:77], s[44:45]
	s_cbranch_execz .LBB28_17
.LBB28_41:                              ;   in Loop: Header=BB28_7 Depth=2
	v_lshlrev_b64 v[40:41], 2, v[3:4]
	v_mov_b32_e32 v42, s39
	v_add_co_u32_e32 v40, vcc, s38, v40
	v_add_u32_e32 v39, v29, v24
	v_addc_co_u32_e32 v41, vcc, v42, v41, vcc
	global_load_dword v41, v[40:41], off offset:36
	v_ashrrev_i32_e32 v40, 31, v39
	v_lshlrev_b64 v[39:40], 2, v[39:40]
	v_mov_b32_e32 v42, s35
	v_add_co_u32_e32 v39, vcc, s34, v39
	v_addc_co_u32_e32 v40, vcc, v42, v40, vcc
	global_load_dword v39, v[39:40], off
	s_waitcnt vmcnt(0)
	v_fmac_f32_e32 v37, v41, v39
	s_or_b64 exec, exec, s[76:77]
	s_and_saveexec_b64 s[76:77], s[46:47]
	s_cbranch_execz .LBB28_18
.LBB28_42:                              ;   in Loop: Header=BB28_7 Depth=2
	v_lshlrev_b64 v[40:41], 2, v[3:4]
	v_mov_b32_e32 v42, s39
	v_add_co_u32_e32 v40, vcc, s38, v40
	v_add_u32_e32 v39, v29, v32
	v_addc_co_u32_e32 v41, vcc, v42, v41, vcc
	global_load_dword v41, v[40:41], off offset:40
	v_ashrrev_i32_e32 v40, 31, v39
	v_lshlrev_b64 v[39:40], 2, v[39:40]
	v_mov_b32_e32 v42, s35
	v_add_co_u32_e32 v39, vcc, s34, v39
	v_addc_co_u32_e32 v40, vcc, v42, v40, vcc
	global_load_dword v39, v[39:40], off
	s_waitcnt vmcnt(0)
	v_fmac_f32_e32 v37, v41, v39
	s_or_b64 exec, exec, s[76:77]
	s_and_saveexec_b64 s[76:77], s[48:49]
	s_cbranch_execz .LBB28_19
.LBB28_43:                              ;   in Loop: Header=BB28_7 Depth=2
	v_lshlrev_b64 v[40:41], 2, v[3:4]
	v_mov_b32_e32 v42, s39
	v_add_co_u32_e32 v40, vcc, s38, v40
	v_add_u32_e32 v39, v29, v23
	v_addc_co_u32_e32 v41, vcc, v42, v41, vcc
	global_load_dword v41, v[40:41], off offset:44
	v_ashrrev_i32_e32 v40, 31, v39
	v_lshlrev_b64 v[39:40], 2, v[39:40]
	v_mov_b32_e32 v42, s35
	v_add_co_u32_e32 v39, vcc, s34, v39
	v_addc_co_u32_e32 v40, vcc, v42, v40, vcc
	global_load_dword v39, v[39:40], off
	s_waitcnt vmcnt(0)
	v_fmac_f32_e32 v37, v41, v39
	s_or_b64 exec, exec, s[76:77]
	s_and_saveexec_b64 s[76:77], s[50:51]
	s_cbranch_execz .LBB28_20
.LBB28_44:                              ;   in Loop: Header=BB28_7 Depth=2
	v_lshlrev_b64 v[40:41], 2, v[3:4]
	v_mov_b32_e32 v42, s39
	v_add_co_u32_e32 v40, vcc, s38, v40
	v_add_u32_e32 v39, v29, v22
	v_addc_co_u32_e32 v41, vcc, v42, v41, vcc
	global_load_dword v41, v[40:41], off offset:48
	v_ashrrev_i32_e32 v40, 31, v39
	v_lshlrev_b64 v[39:40], 2, v[39:40]
	v_mov_b32_e32 v42, s35
	v_add_co_u32_e32 v39, vcc, s34, v39
	v_addc_co_u32_e32 v40, vcc, v42, v40, vcc
	global_load_dword v39, v[39:40], off
	s_waitcnt vmcnt(0)
	v_fmac_f32_e32 v37, v41, v39
	s_or_b64 exec, exec, s[76:77]
	s_and_saveexec_b64 s[76:77], s[52:53]
	s_cbranch_execz .LBB28_21
.LBB28_45:                              ;   in Loop: Header=BB28_7 Depth=2
	v_lshlrev_b64 v[40:41], 2, v[3:4]
	v_mov_b32_e32 v42, s39
	v_add_co_u32_e32 v40, vcc, s38, v40
	v_add_u32_e32 v39, v29, v21
	v_addc_co_u32_e32 v41, vcc, v42, v41, vcc
	global_load_dword v41, v[40:41], off offset:52
	v_ashrrev_i32_e32 v40, 31, v39
	v_lshlrev_b64 v[39:40], 2, v[39:40]
	v_mov_b32_e32 v42, s35
	v_add_co_u32_e32 v39, vcc, s34, v39
	v_addc_co_u32_e32 v40, vcc, v42, v40, vcc
	global_load_dword v39, v[39:40], off
	s_waitcnt vmcnt(0)
	v_fmac_f32_e32 v37, v41, v39
	s_or_b64 exec, exec, s[76:77]
	s_and_saveexec_b64 s[76:77], s[54:55]
	s_cbranch_execz .LBB28_22
.LBB28_46:                              ;   in Loop: Header=BB28_7 Depth=2
	v_lshlrev_b64 v[40:41], 2, v[3:4]
	v_mov_b32_e32 v42, s39
	v_add_co_u32_e32 v40, vcc, s38, v40
	v_add_u32_e32 v39, v29, v20
	v_addc_co_u32_e32 v41, vcc, v42, v41, vcc
	global_load_dword v41, v[40:41], off offset:56
	v_ashrrev_i32_e32 v40, 31, v39
	v_lshlrev_b64 v[39:40], 2, v[39:40]
	v_mov_b32_e32 v42, s35
	v_add_co_u32_e32 v39, vcc, s34, v39
	v_addc_co_u32_e32 v40, vcc, v42, v40, vcc
	global_load_dword v39, v[39:40], off
	s_waitcnt vmcnt(0)
	v_fmac_f32_e32 v37, v41, v39
	s_or_b64 exec, exec, s[76:77]
	s_and_saveexec_b64 s[76:77], s[56:57]
	s_cbranch_execz .LBB28_23
.LBB28_47:                              ;   in Loop: Header=BB28_7 Depth=2
	v_lshlrev_b64 v[40:41], 2, v[3:4]
	v_mov_b32_e32 v42, s39
	v_add_co_u32_e32 v40, vcc, s38, v40
	v_add_u32_e32 v39, v29, v31
	v_addc_co_u32_e32 v41, vcc, v42, v41, vcc
	global_load_dword v41, v[40:41], off offset:60
	v_ashrrev_i32_e32 v40, 31, v39
	v_lshlrev_b64 v[39:40], 2, v[39:40]
	v_mov_b32_e32 v42, s35
	v_add_co_u32_e32 v39, vcc, s34, v39
	v_addc_co_u32_e32 v40, vcc, v42, v40, vcc
	global_load_dword v39, v[39:40], off
	s_waitcnt vmcnt(0)
	v_fmac_f32_e32 v37, v41, v39
	s_or_b64 exec, exec, s[76:77]
	s_and_saveexec_b64 s[76:77], s[58:59]
	s_cbranch_execz .LBB28_24
.LBB28_48:                              ;   in Loop: Header=BB28_7 Depth=2
	v_lshlrev_b64 v[40:41], 2, v[3:4]
	v_mov_b32_e32 v42, s39
	v_add_co_u32_e32 v40, vcc, s38, v40
	v_add_u32_e32 v39, v29, v19
	v_addc_co_u32_e32 v41, vcc, v42, v41, vcc
	global_load_dword v41, v[40:41], off offset:64
	v_ashrrev_i32_e32 v40, 31, v39
	v_lshlrev_b64 v[39:40], 2, v[39:40]
	v_mov_b32_e32 v42, s35
	v_add_co_u32_e32 v39, vcc, s34, v39
	v_addc_co_u32_e32 v40, vcc, v42, v40, vcc
	global_load_dword v39, v[39:40], off
	s_waitcnt vmcnt(0)
	v_fmac_f32_e32 v37, v41, v39
	s_or_b64 exec, exec, s[76:77]
	s_and_saveexec_b64 s[76:77], s[60:61]
	s_cbranch_execz .LBB28_25
.LBB28_49:                              ;   in Loop: Header=BB28_7 Depth=2
	v_lshlrev_b64 v[40:41], 2, v[3:4]
	v_mov_b32_e32 v42, s39
	v_add_co_u32_e32 v40, vcc, s38, v40
	v_add_u32_e32 v39, v29, v18
	v_addc_co_u32_e32 v41, vcc, v42, v41, vcc
	global_load_dword v41, v[40:41], off offset:68
	v_ashrrev_i32_e32 v40, 31, v39
	v_lshlrev_b64 v[39:40], 2, v[39:40]
	v_mov_b32_e32 v42, s35
	v_add_co_u32_e32 v39, vcc, s34, v39
	v_addc_co_u32_e32 v40, vcc, v42, v40, vcc
	global_load_dword v39, v[39:40], off
	s_waitcnt vmcnt(0)
	v_fmac_f32_e32 v37, v41, v39
	s_or_b64 exec, exec, s[76:77]
	s_and_saveexec_b64 s[76:77], s[62:63]
	s_cbranch_execz .LBB28_26
.LBB28_50:                              ;   in Loop: Header=BB28_7 Depth=2
	v_lshlrev_b64 v[40:41], 2, v[3:4]
	v_mov_b32_e32 v42, s39
	v_add_co_u32_e32 v40, vcc, s38, v40
	v_add_u32_e32 v39, v29, v17
	v_addc_co_u32_e32 v41, vcc, v42, v41, vcc
	global_load_dword v41, v[40:41], off offset:72
	v_ashrrev_i32_e32 v40, 31, v39
	v_lshlrev_b64 v[39:40], 2, v[39:40]
	v_mov_b32_e32 v42, s35
	v_add_co_u32_e32 v39, vcc, s34, v39
	v_addc_co_u32_e32 v40, vcc, v42, v40, vcc
	global_load_dword v39, v[39:40], off
	s_waitcnt vmcnt(0)
	v_fmac_f32_e32 v37, v41, v39
	s_or_b64 exec, exec, s[76:77]
	s_and_saveexec_b64 s[76:77], s[64:65]
	s_cbranch_execz .LBB28_27
.LBB28_51:                              ;   in Loop: Header=BB28_7 Depth=2
	v_lshlrev_b64 v[40:41], 2, v[3:4]
	v_mov_b32_e32 v42, s39
	v_add_co_u32_e32 v40, vcc, s38, v40
	v_add_u32_e32 v39, v29, v16
	v_addc_co_u32_e32 v41, vcc, v42, v41, vcc
	global_load_dword v41, v[40:41], off offset:76
	v_ashrrev_i32_e32 v40, 31, v39
	v_lshlrev_b64 v[39:40], 2, v[39:40]
	v_mov_b32_e32 v42, s35
	v_add_co_u32_e32 v39, vcc, s34, v39
	v_addc_co_u32_e32 v40, vcc, v42, v40, vcc
	global_load_dword v39, v[39:40], off
	s_waitcnt vmcnt(0)
	v_fmac_f32_e32 v37, v41, v39
	s_or_b64 exec, exec, s[76:77]
	s_and_saveexec_b64 s[76:77], s[66:67]
	s_cbranch_execz .LBB28_28
.LBB28_52:                              ;   in Loop: Header=BB28_7 Depth=2
	v_lshlrev_b64 v[40:41], 2, v[3:4]
	v_mov_b32_e32 v42, s39
	v_add_co_u32_e32 v40, vcc, s38, v40
	v_add_u32_e32 v39, v29, v30
	v_addc_co_u32_e32 v41, vcc, v42, v41, vcc
	global_load_dword v41, v[40:41], off offset:80
	v_ashrrev_i32_e32 v40, 31, v39
	v_lshlrev_b64 v[39:40], 2, v[39:40]
	v_mov_b32_e32 v42, s35
	v_add_co_u32_e32 v39, vcc, s34, v39
	v_addc_co_u32_e32 v40, vcc, v42, v40, vcc
	global_load_dword v39, v[39:40], off
	s_waitcnt vmcnt(0)
	v_fmac_f32_e32 v37, v41, v39
	s_or_b64 exec, exec, s[76:77]
	s_and_saveexec_b64 s[76:77], s[68:69]
	s_cbranch_execz .LBB28_29
.LBB28_53:                              ;   in Loop: Header=BB28_7 Depth=2
	v_lshlrev_b64 v[40:41], 2, v[3:4]
	v_mov_b32_e32 v42, s39
	v_add_co_u32_e32 v40, vcc, s38, v40
	v_add_u32_e32 v39, v29, v15
	v_addc_co_u32_e32 v41, vcc, v42, v41, vcc
	global_load_dword v41, v[40:41], off offset:84
	v_ashrrev_i32_e32 v40, 31, v39
	v_lshlrev_b64 v[39:40], 2, v[39:40]
	v_mov_b32_e32 v42, s35
	v_add_co_u32_e32 v39, vcc, s34, v39
	v_addc_co_u32_e32 v40, vcc, v42, v40, vcc
	global_load_dword v39, v[39:40], off
	s_waitcnt vmcnt(0)
	v_fmac_f32_e32 v37, v41, v39
	s_or_b64 exec, exec, s[76:77]
	s_and_saveexec_b64 s[76:77], s[70:71]
	s_cbranch_execz .LBB28_30
.LBB28_54:                              ;   in Loop: Header=BB28_7 Depth=2
	v_lshlrev_b64 v[40:41], 2, v[3:4]
	v_mov_b32_e32 v42, s39
	v_add_co_u32_e32 v40, vcc, s38, v40
	v_add_u32_e32 v39, v29, v14
	v_addc_co_u32_e32 v41, vcc, v42, v41, vcc
	global_load_dword v41, v[40:41], off offset:88
	v_ashrrev_i32_e32 v40, 31, v39
	v_lshlrev_b64 v[39:40], 2, v[39:40]
	v_mov_b32_e32 v42, s35
	v_add_co_u32_e32 v39, vcc, s34, v39
	v_addc_co_u32_e32 v40, vcc, v42, v40, vcc
	global_load_dword v39, v[39:40], off
	s_waitcnt vmcnt(0)
	v_fmac_f32_e32 v37, v41, v39
	s_or_b64 exec, exec, s[76:77]
	s_and_saveexec_b64 s[76:77], s[72:73]
	s_cbranch_execz .LBB28_31
.LBB28_55:                              ;   in Loop: Header=BB28_7 Depth=2
	v_lshlrev_b64 v[40:41], 2, v[3:4]
	v_mov_b32_e32 v42, s39
	v_add_co_u32_e32 v40, vcc, s38, v40
	v_add_u32_e32 v39, v29, v13
	v_addc_co_u32_e32 v41, vcc, v42, v41, vcc
	global_load_dword v41, v[40:41], off offset:92
	v_ashrrev_i32_e32 v40, 31, v39
	v_lshlrev_b64 v[39:40], 2, v[39:40]
	v_mov_b32_e32 v42, s35
	v_add_co_u32_e32 v39, vcc, s34, v39
	v_addc_co_u32_e32 v40, vcc, v42, v40, vcc
	global_load_dword v39, v[39:40], off
	s_waitcnt vmcnt(0)
	v_fmac_f32_e32 v37, v41, v39
	s_or_b64 exec, exec, s[76:77]
	s_and_saveexec_b64 s[76:77], s[74:75]
	s_cbranch_execz .LBB28_6
.LBB28_56:                              ;   in Loop: Header=BB28_7 Depth=2
	v_lshlrev_b64 v[40:41], 2, v[3:4]
	v_mov_b32_e32 v4, s39
	v_add_co_u32_e32 v40, vcc, s38, v40
	v_add_u32_e32 v39, v29, v12
	v_addc_co_u32_e32 v41, vcc, v4, v41, vcc
	global_load_dword v4, v[40:41], off offset:96
	v_ashrrev_i32_e32 v40, 31, v39
	v_lshlrev_b64 v[39:40], 2, v[39:40]
	v_mov_b32_e32 v41, s35
	v_add_co_u32_e32 v39, vcc, s34, v39
	v_addc_co_u32_e32 v40, vcc, v41, v40, vcc
	global_load_dword v39, v[39:40], off
	s_waitcnt vmcnt(0)
	v_fmac_f32_e32 v37, v4, v39
	s_branch .LBB28_6
.LBB28_57:
	s_endpgm
	.section	.rodata,"a",@progbits
	.p2align	6, 0x0
	.amdhsa_kernel _ZN2at6native12_GLOBAL__N_132conv_depthwise2d_backward_kernelILi5ELi1EfiEEvN5torch10headeronly6detail27GenericPackedTensorAccessorINS5_14TensorAccessorIN3c108ArrayRefIlEEKT1_Lm3ENS4_16DefaultPtrTraitsEiEENS_6detail16IndexBoundsCheckILm4EiEESC_Lm4ESD_iEENS6_INS7_ISA_SB_Lm3ESD_iEESH_SB_Lm4ESD_iEESI_T2_iiiiiiiiiiiiiii
		.amdhsa_group_segment_fixed_size 0
		.amdhsa_private_segment_fixed_size 0
		.amdhsa_kernarg_size 440
		.amdhsa_user_sgpr_count 6
		.amdhsa_user_sgpr_private_segment_buffer 1
		.amdhsa_user_sgpr_dispatch_ptr 0
		.amdhsa_user_sgpr_queue_ptr 0
		.amdhsa_user_sgpr_kernarg_segment_ptr 1
		.amdhsa_user_sgpr_dispatch_id 0
		.amdhsa_user_sgpr_flat_scratch_init 0
		.amdhsa_user_sgpr_private_segment_size 0
		.amdhsa_uses_dynamic_stack 0
		.amdhsa_system_sgpr_private_segment_wavefront_offset 0
		.amdhsa_system_sgpr_workgroup_id_x 1
		.amdhsa_system_sgpr_workgroup_id_y 0
		.amdhsa_system_sgpr_workgroup_id_z 0
		.amdhsa_system_sgpr_workgroup_info 0
		.amdhsa_system_vgpr_workitem_id 0
		.amdhsa_next_free_vgpr 44
		.amdhsa_next_free_sgpr 96
		.amdhsa_reserve_vcc 1
		.amdhsa_reserve_flat_scratch 0
		.amdhsa_float_round_mode_32 0
		.amdhsa_float_round_mode_16_64 0
		.amdhsa_float_denorm_mode_32 3
		.amdhsa_float_denorm_mode_16_64 3
		.amdhsa_dx10_clamp 1
		.amdhsa_ieee_mode 1
		.amdhsa_fp16_overflow 0
		.amdhsa_exception_fp_ieee_invalid_op 0
		.amdhsa_exception_fp_denorm_src 0
		.amdhsa_exception_fp_ieee_div_zero 0
		.amdhsa_exception_fp_ieee_overflow 0
		.amdhsa_exception_fp_ieee_underflow 0
		.amdhsa_exception_fp_ieee_inexact 0
		.amdhsa_exception_int_div_zero 0
	.end_amdhsa_kernel
	.section	.text._ZN2at6native12_GLOBAL__N_132conv_depthwise2d_backward_kernelILi5ELi1EfiEEvN5torch10headeronly6detail27GenericPackedTensorAccessorINS5_14TensorAccessorIN3c108ArrayRefIlEEKT1_Lm3ENS4_16DefaultPtrTraitsEiEENS_6detail16IndexBoundsCheckILm4EiEESC_Lm4ESD_iEENS6_INS7_ISA_SB_Lm3ESD_iEESH_SB_Lm4ESD_iEESI_T2_iiiiiiiiiiiiiii,"axG",@progbits,_ZN2at6native12_GLOBAL__N_132conv_depthwise2d_backward_kernelILi5ELi1EfiEEvN5torch10headeronly6detail27GenericPackedTensorAccessorINS5_14TensorAccessorIN3c108ArrayRefIlEEKT1_Lm3ENS4_16DefaultPtrTraitsEiEENS_6detail16IndexBoundsCheckILm4EiEESC_Lm4ESD_iEENS6_INS7_ISA_SB_Lm3ESD_iEESH_SB_Lm4ESD_iEESI_T2_iiiiiiiiiiiiiii,comdat
.Lfunc_end28:
	.size	_ZN2at6native12_GLOBAL__N_132conv_depthwise2d_backward_kernelILi5ELi1EfiEEvN5torch10headeronly6detail27GenericPackedTensorAccessorINS5_14TensorAccessorIN3c108ArrayRefIlEEKT1_Lm3ENS4_16DefaultPtrTraitsEiEENS_6detail16IndexBoundsCheckILm4EiEESC_Lm4ESD_iEENS6_INS7_ISA_SB_Lm3ESD_iEESH_SB_Lm4ESD_iEESI_T2_iiiiiiiiiiiiiii, .Lfunc_end28-_ZN2at6native12_GLOBAL__N_132conv_depthwise2d_backward_kernelILi5ELi1EfiEEvN5torch10headeronly6detail27GenericPackedTensorAccessorINS5_14TensorAccessorIN3c108ArrayRefIlEEKT1_Lm3ENS4_16DefaultPtrTraitsEiEENS_6detail16IndexBoundsCheckILm4EiEESC_Lm4ESD_iEENS6_INS7_ISA_SB_Lm3ESD_iEESH_SB_Lm4ESD_iEESI_T2_iiiiiiiiiiiiiii
                                        ; -- End function
	.set _ZN2at6native12_GLOBAL__N_132conv_depthwise2d_backward_kernelILi5ELi1EfiEEvN5torch10headeronly6detail27GenericPackedTensorAccessorINS5_14TensorAccessorIN3c108ArrayRefIlEEKT1_Lm3ENS4_16DefaultPtrTraitsEiEENS_6detail16IndexBoundsCheckILm4EiEESC_Lm4ESD_iEENS6_INS7_ISA_SB_Lm3ESD_iEESH_SB_Lm4ESD_iEESI_T2_iiiiiiiiiiiiiii.num_vgpr, 44
	.set _ZN2at6native12_GLOBAL__N_132conv_depthwise2d_backward_kernelILi5ELi1EfiEEvN5torch10headeronly6detail27GenericPackedTensorAccessorINS5_14TensorAccessorIN3c108ArrayRefIlEEKT1_Lm3ENS4_16DefaultPtrTraitsEiEENS_6detail16IndexBoundsCheckILm4EiEESC_Lm4ESD_iEENS6_INS7_ISA_SB_Lm3ESD_iEESH_SB_Lm4ESD_iEESI_T2_iiiiiiiiiiiiiii.num_agpr, 0
	.set _ZN2at6native12_GLOBAL__N_132conv_depthwise2d_backward_kernelILi5ELi1EfiEEvN5torch10headeronly6detail27GenericPackedTensorAccessorINS5_14TensorAccessorIN3c108ArrayRefIlEEKT1_Lm3ENS4_16DefaultPtrTraitsEiEENS_6detail16IndexBoundsCheckILm4EiEESC_Lm4ESD_iEENS6_INS7_ISA_SB_Lm3ESD_iEESH_SB_Lm4ESD_iEESI_T2_iiiiiiiiiiiiiii.numbered_sgpr, 96
	.set _ZN2at6native12_GLOBAL__N_132conv_depthwise2d_backward_kernelILi5ELi1EfiEEvN5torch10headeronly6detail27GenericPackedTensorAccessorINS5_14TensorAccessorIN3c108ArrayRefIlEEKT1_Lm3ENS4_16DefaultPtrTraitsEiEENS_6detail16IndexBoundsCheckILm4EiEESC_Lm4ESD_iEENS6_INS7_ISA_SB_Lm3ESD_iEESH_SB_Lm4ESD_iEESI_T2_iiiiiiiiiiiiiii.num_named_barrier, 0
	.set _ZN2at6native12_GLOBAL__N_132conv_depthwise2d_backward_kernelILi5ELi1EfiEEvN5torch10headeronly6detail27GenericPackedTensorAccessorINS5_14TensorAccessorIN3c108ArrayRefIlEEKT1_Lm3ENS4_16DefaultPtrTraitsEiEENS_6detail16IndexBoundsCheckILm4EiEESC_Lm4ESD_iEENS6_INS7_ISA_SB_Lm3ESD_iEESH_SB_Lm4ESD_iEESI_T2_iiiiiiiiiiiiiii.private_seg_size, 0
	.set _ZN2at6native12_GLOBAL__N_132conv_depthwise2d_backward_kernelILi5ELi1EfiEEvN5torch10headeronly6detail27GenericPackedTensorAccessorINS5_14TensorAccessorIN3c108ArrayRefIlEEKT1_Lm3ENS4_16DefaultPtrTraitsEiEENS_6detail16IndexBoundsCheckILm4EiEESC_Lm4ESD_iEENS6_INS7_ISA_SB_Lm3ESD_iEESH_SB_Lm4ESD_iEESI_T2_iiiiiiiiiiiiiii.uses_vcc, 1
	.set _ZN2at6native12_GLOBAL__N_132conv_depthwise2d_backward_kernelILi5ELi1EfiEEvN5torch10headeronly6detail27GenericPackedTensorAccessorINS5_14TensorAccessorIN3c108ArrayRefIlEEKT1_Lm3ENS4_16DefaultPtrTraitsEiEENS_6detail16IndexBoundsCheckILm4EiEESC_Lm4ESD_iEENS6_INS7_ISA_SB_Lm3ESD_iEESH_SB_Lm4ESD_iEESI_T2_iiiiiiiiiiiiiii.uses_flat_scratch, 0
	.set _ZN2at6native12_GLOBAL__N_132conv_depthwise2d_backward_kernelILi5ELi1EfiEEvN5torch10headeronly6detail27GenericPackedTensorAccessorINS5_14TensorAccessorIN3c108ArrayRefIlEEKT1_Lm3ENS4_16DefaultPtrTraitsEiEENS_6detail16IndexBoundsCheckILm4EiEESC_Lm4ESD_iEENS6_INS7_ISA_SB_Lm3ESD_iEESH_SB_Lm4ESD_iEESI_T2_iiiiiiiiiiiiiii.has_dyn_sized_stack, 0
	.set _ZN2at6native12_GLOBAL__N_132conv_depthwise2d_backward_kernelILi5ELi1EfiEEvN5torch10headeronly6detail27GenericPackedTensorAccessorINS5_14TensorAccessorIN3c108ArrayRefIlEEKT1_Lm3ENS4_16DefaultPtrTraitsEiEENS_6detail16IndexBoundsCheckILm4EiEESC_Lm4ESD_iEENS6_INS7_ISA_SB_Lm3ESD_iEESH_SB_Lm4ESD_iEESI_T2_iiiiiiiiiiiiiii.has_recursion, 0
	.set _ZN2at6native12_GLOBAL__N_132conv_depthwise2d_backward_kernelILi5ELi1EfiEEvN5torch10headeronly6detail27GenericPackedTensorAccessorINS5_14TensorAccessorIN3c108ArrayRefIlEEKT1_Lm3ENS4_16DefaultPtrTraitsEiEENS_6detail16IndexBoundsCheckILm4EiEESC_Lm4ESD_iEENS6_INS7_ISA_SB_Lm3ESD_iEESH_SB_Lm4ESD_iEESI_T2_iiiiiiiiiiiiiii.has_indirect_call, 0
	.section	.AMDGPU.csdata,"",@progbits
; Kernel info:
; codeLenInByte = 4100
; TotalNumSgprs: 100
; NumVgprs: 44
; ScratchSize: 0
; MemoryBound: 0
; FloatMode: 240
; IeeeMode: 1
; LDSByteSize: 0 bytes/workgroup (compile time only)
; SGPRBlocks: 12
; VGPRBlocks: 10
; NumSGPRsForWavesPerEU: 100
; NumVGPRsForWavesPerEU: 44
; Occupancy: 5
; WaveLimiterHint : 0
; COMPUTE_PGM_RSRC2:SCRATCH_EN: 0
; COMPUTE_PGM_RSRC2:USER_SGPR: 6
; COMPUTE_PGM_RSRC2:TRAP_HANDLER: 0
; COMPUTE_PGM_RSRC2:TGID_X_EN: 1
; COMPUTE_PGM_RSRC2:TGID_Y_EN: 0
; COMPUTE_PGM_RSRC2:TGID_Z_EN: 0
; COMPUTE_PGM_RSRC2:TIDIG_COMP_CNT: 0
	.section	.text._ZN2at6native12_GLOBAL__N_132conv_depthwise2d_backward_kernelILi5ELi2EfiEEvN5torch10headeronly6detail27GenericPackedTensorAccessorINS5_14TensorAccessorIN3c108ArrayRefIlEEKT1_Lm3ENS4_16DefaultPtrTraitsEiEENS_6detail16IndexBoundsCheckILm4EiEESC_Lm4ESD_iEENS6_INS7_ISA_SB_Lm3ESD_iEESH_SB_Lm4ESD_iEESI_T2_iiiiiiiiiiiiiii,"axG",@progbits,_ZN2at6native12_GLOBAL__N_132conv_depthwise2d_backward_kernelILi5ELi2EfiEEvN5torch10headeronly6detail27GenericPackedTensorAccessorINS5_14TensorAccessorIN3c108ArrayRefIlEEKT1_Lm3ENS4_16DefaultPtrTraitsEiEENS_6detail16IndexBoundsCheckILm4EiEESC_Lm4ESD_iEENS6_INS7_ISA_SB_Lm3ESD_iEESH_SB_Lm4ESD_iEESI_T2_iiiiiiiiiiiiiii,comdat
	.globl	_ZN2at6native12_GLOBAL__N_132conv_depthwise2d_backward_kernelILi5ELi2EfiEEvN5torch10headeronly6detail27GenericPackedTensorAccessorINS5_14TensorAccessorIN3c108ArrayRefIlEEKT1_Lm3ENS4_16DefaultPtrTraitsEiEENS_6detail16IndexBoundsCheckILm4EiEESC_Lm4ESD_iEENS6_INS7_ISA_SB_Lm3ESD_iEESH_SB_Lm4ESD_iEESI_T2_iiiiiiiiiiiiiii ; -- Begin function _ZN2at6native12_GLOBAL__N_132conv_depthwise2d_backward_kernelILi5ELi2EfiEEvN5torch10headeronly6detail27GenericPackedTensorAccessorINS5_14TensorAccessorIN3c108ArrayRefIlEEKT1_Lm3ENS4_16DefaultPtrTraitsEiEENS_6detail16IndexBoundsCheckILm4EiEESC_Lm4ESD_iEENS6_INS7_ISA_SB_Lm3ESD_iEESH_SB_Lm4ESD_iEESI_T2_iiiiiiiiiiiiiii
	.p2align	8
	.type	_ZN2at6native12_GLOBAL__N_132conv_depthwise2d_backward_kernelILi5ELi2EfiEEvN5torch10headeronly6detail27GenericPackedTensorAccessorINS5_14TensorAccessorIN3c108ArrayRefIlEEKT1_Lm3ENS4_16DefaultPtrTraitsEiEENS_6detail16IndexBoundsCheckILm4EiEESC_Lm4ESD_iEENS6_INS7_ISA_SB_Lm3ESD_iEESH_SB_Lm4ESD_iEESI_T2_iiiiiiiiiiiiiii,@function
_ZN2at6native12_GLOBAL__N_132conv_depthwise2d_backward_kernelILi5ELi2EfiEEvN5torch10headeronly6detail27GenericPackedTensorAccessorINS5_14TensorAccessorIN3c108ArrayRefIlEEKT1_Lm3ENS4_16DefaultPtrTraitsEiEENS_6detail16IndexBoundsCheckILm4EiEESC_Lm4ESD_iEENS6_INS7_ISA_SB_Lm3ESD_iEESH_SB_Lm4ESD_iEESI_T2_iiiiiiiiiiiiiii: ; @_ZN2at6native12_GLOBAL__N_132conv_depthwise2d_backward_kernelILi5ELi2EfiEEvN5torch10headeronly6detail27GenericPackedTensorAccessorINS5_14TensorAccessorIN3c108ArrayRefIlEEKT1_Lm3ENS4_16DefaultPtrTraitsEiEENS_6detail16IndexBoundsCheckILm4EiEESC_Lm4ESD_iEENS6_INS7_ISA_SB_Lm3ESD_iEESH_SB_Lm4ESD_iEESI_T2_iiiiiiiiiiiiiii
; %bb.0:
	s_load_dword s2, s[4:5], 0xc4
	s_load_dwordx8 s[8:15], s[4:5], 0x78
	s_add_u32 s0, s4, 0xb8
	s_addc_u32 s1, s5, 0
	v_mov_b32_e32 v1, 0
	s_waitcnt lgkmcnt(0)
	s_and_b32 s2, s2, 0xffff
	v_mov_b32_e32 v2, s6
	v_mad_u64_u32 v[0:1], s[6:7], s2, v2, v[0:1]
	s_ashr_i32 s7, s8, 31
	s_mov_b32 s6, s8
	v_cmp_gt_i64_e32 vcc, s[6:7], v[0:1]
	s_and_saveexec_b64 s[16:17], vcc
	s_cbranch_execz .LBB29_57
; %bb.1:
	s_cmp_gt_i32 s10, 0
	s_cselect_b64 s[28:29], -1, 0
	s_abs_i32 s8, s12
	v_cvt_f32_u32_e32 v2, s8
	s_abs_i32 s33, s13
	v_cvt_f32_u32_e32 v3, s33
	s_abs_i32 s82, s9
	v_rcp_iflag_f32_e32 v2, v2
	v_cvt_f32_u32_e32 v4, s82
	v_rcp_iflag_f32_e32 v3, v3
	s_load_dwordx2 s[26:27], s[4:5], 0x98
	s_load_dwordx2 s[20:21], s[4:5], 0x0
	;; [unrolled: 1-line block ×4, first 2 shown]
	s_load_dword s3, s[0:1], 0x0
	v_mul_f32_e32 v2, 0x4f7ffffe, v2
	v_rcp_iflag_f32_e32 v4, v4
	v_cvt_u32_f32_e32 v2, v2
	v_mul_f32_e32 v3, 0x4f7ffffe, v3
	s_sub_i32 s0, 0, s8
	v_cvt_u32_f32_e32 v3, v3
	v_mul_f32_e32 v4, 0x4f7ffffe, v4
	v_mul_lo_u32 v5, s0, v2
	v_cvt_u32_f32_e32 v6, v4
	s_sub_i32 s0, 0, s33
	v_mul_lo_u32 v4, s0, v3
	s_sub_i32 s0, 0, s82
	v_mul_hi_u32 v5, v2, v5
	v_mul_lo_u32 v7, s0, v6
	v_mul_hi_u32 v8, v3, v4
	s_load_dwordx4 s[16:19], s[4:5], 0xa8
	v_add_u32_e32 v4, v2, v5
	v_mul_hi_u32 v2, v6, v7
	s_waitcnt lgkmcnt(0)
	s_mul_i32 s87, s27, s26
	s_mul_i32 s83, s3, s2
	s_ashr_i32 s84, s12, 31
	v_add_u32_e32 v6, v6, v2
	v_cndmask_b32_e64 v2, 0, 1, s[28:29]
	s_ashr_i32 s85, s13, 31
	v_add_u32_e32 v5, v3, v8
	s_ashr_i32 s86, s9, 31
	s_mul_i32 s88, s87, s10
	s_mul_i32 s89, s15, s14
	s_mov_b64 s[26:27], 0
	v_cmp_ne_u32_e64 s[0:1], 1, v2
	s_branch .LBB29_4
.LBB29_2:                               ;   in Loop: Header=BB29_4 Depth=1
	v_mov_b32_e32 v22, 0
.LBB29_3:                               ;   in Loop: Header=BB29_4 Depth=1
	v_lshlrev_b64 v[2:3], 2, v[0:1]
	v_add_co_u32_e32 v0, vcc, s83, v0
	v_addc_co_u32_e32 v1, vcc, 0, v1, vcc
	v_cmp_le_i64_e32 vcc, s[6:7], v[0:1]
	v_mov_b32_e32 v7, s23
	v_add_co_u32_e64 v2, s[2:3], s22, v2
	v_addc_co_u32_e64 v3, s[2:3], v7, v3, s[2:3]
	s_or_b64 s[26:27], vcc, s[26:27]
	global_store_dword v[2:3], v22, off
	s_andn2_b64 exec, exec, s[26:27]
	s_cbranch_execz .LBB29_57
.LBB29_4:                               ; =>This Loop Header: Depth=1
                                        ;     Child Loop BB29_7 Depth 2
	s_and_b64 vcc, exec, s[0:1]
	s_cbranch_vccnz .LBB29_2
; %bb.5:                                ;   in Loop: Header=BB29_4 Depth=1
	v_sub_u32_e32 v2, 0, v0
	v_max_i32_e32 v2, v0, v2
	v_mul_hi_u32 v3, v2, v4
	v_ashrrev_i32_e32 v8, 31, v0
	v_xor_b32_e32 v8, s84, v8
	v_add_u32_e32 v15, s16, v0
	v_mul_lo_u32 v7, v3, s8
	v_add_u32_e32 v9, 1, v3
	v_sub_u32_e32 v2, v2, v7
	v_cmp_le_u32_e32 vcc, s8, v2
	v_subrev_u32_e32 v7, s8, v2
	v_cndmask_b32_e32 v3, v3, v9, vcc
	v_cndmask_b32_e32 v2, v2, v7, vcc
	v_add_u32_e32 v7, 1, v3
	v_cmp_le_u32_e32 vcc, s8, v2
	v_cndmask_b32_e32 v2, v3, v7, vcc
	v_xor_b32_e32 v2, v2, v8
	v_sub_u32_e32 v2, v2, v8
	v_sub_u32_e32 v3, 0, v2
	v_max_i32_e32 v3, v2, v3
	v_mul_hi_u32 v7, v3, v5
	v_ashrrev_i32_e32 v9, 31, v2
	v_xor_b32_e32 v9, s85, v9
	v_add_u32_e32 v17, s17, v2
	v_mul_lo_u32 v8, v7, s33
	v_add_u32_e32 v10, 1, v7
	v_sub_u32_e32 v3, v3, v8
	v_cmp_le_u32_e32 vcc, s33, v3
	v_subrev_u32_e32 v8, s33, v3
	v_cndmask_b32_e32 v7, v7, v10, vcc
	v_cndmask_b32_e32 v3, v3, v8, vcc
	v_add_u32_e32 v8, 1, v7
	v_cmp_le_u32_e32 vcc, s33, v3
	v_cndmask_b32_e32 v3, v7, v8, vcc
	v_xor_b32_e32 v3, v3, v9
	v_sub_u32_e32 v7, v3, v9
	v_sub_u32_e32 v3, 0, v7
	v_max_i32_e32 v3, v7, v3
	v_mul_hi_u32 v8, v3, v6
	v_mul_lo_u32 v14, v7, s13
	v_mul_lo_u32 v9, v8, s82
	v_add_u32_e32 v10, 1, v8
	v_sub_u32_e32 v19, v17, v14
	v_add_u32_e32 v14, s19, v14
	v_sub_u32_e32 v3, v3, v9
	v_cmp_le_u32_e32 vcc, s82, v3
	v_subrev_u32_e32 v9, s82, v3
	v_cndmask_b32_e32 v8, v8, v10, vcc
	v_cndmask_b32_e32 v3, v3, v9, vcc
	v_add_u32_e32 v9, 1, v8
	v_cmp_le_u32_e32 vcc, s82, v3
	v_cndmask_b32_e32 v8, v8, v9, vcc
	v_mul_lo_u32 v9, v2, s12
	v_ashrrev_i32_e32 v3, 1, v19
	v_sub_u32_e32 v23, v17, v14
	v_cmp_gt_i32_e32 vcc, s15, v3
	v_sub_u32_e32 v11, v15, v9
	v_add_u32_e32 v9, s18, v9
	v_ashrrev_i32_e32 v2, 1, v11
	v_sub_u32_e32 v12, v15, v9
	v_add_u32_e32 v9, s18, v9
	v_cmp_lt_i32_e64 s[2:3], -1, v2
	v_cmp_gt_i32_e64 s[4:5], s14, v2
	v_ashrrev_i32_e32 v22, 1, v12
	v_sub_u32_e32 v13, v15, v9
	v_add_u32_e32 v9, s18, v9
	s_and_b64 s[38:39], s[2:3], s[4:5]
	v_cmp_lt_i32_e64 s[2:3], -1, v22
	v_cmp_gt_i32_e64 s[4:5], s14, v22
	v_ashrrev_i32_e32 v30, 1, v13
	v_sub_u32_e32 v10, v15, v9
	v_add_u32_e32 v9, s18, v9
	s_and_b64 s[70:71], s[2:3], s[4:5]
	v_cmp_lt_i32_e64 s[2:3], -1, v30
	v_cmp_gt_i32_e64 s[4:5], s14, v30
	v_sub_u32_e32 v9, v15, v9
	v_ashrrev_i32_e32 v29, 1, v10
	s_and_b64 s[72:73], s[2:3], s[4:5]
	v_cmp_lt_i32_e64 s[2:3], -1, v29
	v_cmp_gt_i32_e64 s[4:5], s14, v29
	v_ashrrev_i32_e32 v28, 1, v9
	s_and_b64 s[74:75], s[2:3], s[4:5]
	v_cmp_lt_i32_e64 s[2:3], -1, v28
	v_cmp_gt_i32_e64 s[4:5], s14, v28
	v_add_u32_e32 v15, s19, v14
	s_and_b64 s[2:3], s[2:3], s[4:5]
	v_ashrrev_i32_e32 v16, 1, v23
	v_sub_u32_e32 v21, v17, v15
	v_add_u32_e32 v18, s19, v15
	s_and_b64 s[28:29], vcc, s[38:39]
	s_and_b64 s[30:31], vcc, s[70:71]
	;; [unrolled: 1-line block ×5, first 2 shown]
	v_cmp_gt_i32_e32 vcc, s15, v16
	v_ashrrev_i32_e32 v14, 1, v21
	v_sub_u32_e32 v20, v17, v18
	v_add_u32_e32 v18, s19, v18
	s_and_b64 s[80:81], vcc, s[38:39]
	s_and_b64 s[78:79], vcc, s[70:71]
	s_and_b64 s[42:43], vcc, s[72:73]
	s_and_b64 s[44:45], vcc, s[74:75]
	s_and_b64 s[46:47], vcc, s[2:3]
	v_cmp_gt_i32_e32 vcc, s15, v14
	v_ashrrev_i32_e32 v15, 1, v20
	v_sub_u32_e32 v17, v17, v18
	s_and_b64 s[48:49], vcc, s[38:39]
	s_and_b64 s[50:51], vcc, s[70:71]
	;; [unrolled: 1-line block ×5, first 2 shown]
	v_cmp_gt_i32_e32 vcc, s15, v15
	v_ashrrev_i32_e32 v18, 1, v17
	v_or_b32_e32 v24, v19, v11
	s_and_b64 s[58:59], vcc, s[38:39]
	s_and_b64 s[60:61], vcc, s[70:71]
	;; [unrolled: 1-line block ×5, first 2 shown]
	v_cmp_gt_i32_e32 vcc, s15, v18
	v_and_b32_e32 v24, 1, v24
	s_and_b64 s[68:69], vcc, s[38:39]
	s_and_b64 s[70:71], vcc, s[70:71]
	s_and_b64 s[72:73], vcc, s[72:73]
	s_and_b64 s[74:75], vcc, s[74:75]
	s_and_b64 s[76:77], vcc, s[2:3]
	v_cmp_gt_i32_e32 vcc, 0, v3
	v_cmp_eq_u32_e64 s[2:3], 1, v24
	v_or_b32_e32 v24, v19, v12
	s_or_b64 s[2:3], s[2:3], vcc
	s_xor_b64 s[4:5], s[28:29], -1
	v_and_b32_e32 v24, 1, v24
	s_nor_b64 s[4:5], s[2:3], s[4:5]
	v_cmp_eq_u32_e64 s[2:3], 1, v24
	v_or_b32_e32 v24, v19, v13
	s_or_b64 s[2:3], s[2:3], vcc
	s_xor_b64 s[28:29], s[30:31], -1
	v_and_b32_e32 v24, 1, v24
	s_nor_b64 s[28:29], s[2:3], s[28:29]
	v_cmp_eq_u32_e64 s[2:3], 1, v24
	v_or_b32_e32 v24, v19, v10
	s_or_b64 s[2:3], s[2:3], vcc
	s_xor_b64 s[30:31], s[34:35], -1
	v_and_b32_e32 v24, 1, v24
	s_nor_b64 s[30:31], s[2:3], s[30:31]
	v_cmp_eq_u32_e64 s[2:3], 1, v24
	v_or_b32_e32 v19, v19, v9
	s_or_b64 s[2:3], s[2:3], vcc
	s_xor_b64 s[34:35], s[36:37], -1
	v_and_b32_e32 v19, 1, v19
	s_nor_b64 s[34:35], s[2:3], s[34:35]
	v_cmp_eq_u32_e64 s[2:3], 1, v19
	v_or_b32_e32 v19, v23, v11
	s_or_b64 s[2:3], s[2:3], vcc
	s_xor_b64 s[36:37], s[40:41], -1
	v_and_b32_e32 v19, 1, v19
	s_nor_b64 s[36:37], s[2:3], s[36:37]
	v_cmp_gt_i32_e32 vcc, 0, v16
	v_cmp_eq_u32_e64 s[2:3], 1, v19
	v_or_b32_e32 v19, v23, v12
	s_or_b64 s[2:3], s[2:3], vcc
	s_xor_b64 s[38:39], s[80:81], -1
	v_and_b32_e32 v19, 1, v19
	s_nor_b64 s[38:39], s[2:3], s[38:39]
	v_cmp_eq_u32_e64 s[2:3], 1, v19
	v_or_b32_e32 v19, v23, v13
	s_or_b64 s[2:3], s[2:3], vcc
	s_xor_b64 s[40:41], s[78:79], -1
	v_and_b32_e32 v19, 1, v19
	s_nor_b64 s[40:41], s[2:3], s[40:41]
	v_cmp_eq_u32_e64 s[2:3], 1, v19
	v_or_b32_e32 v19, v23, v10
	s_or_b64 s[2:3], s[2:3], vcc
	s_xor_b64 s[42:43], s[42:43], -1
	v_and_b32_e32 v19, 1, v19
	s_nor_b64 s[42:43], s[2:3], s[42:43]
	v_cmp_eq_u32_e64 s[2:3], 1, v19
	v_or_b32_e32 v19, v23, v9
	s_or_b64 s[2:3], s[2:3], vcc
	s_xor_b64 s[44:45], s[44:45], -1
	v_and_b32_e32 v19, 1, v19
	s_nor_b64 s[44:45], s[2:3], s[44:45]
	v_cmp_eq_u32_e64 s[2:3], 1, v19
	v_or_b32_e32 v19, v21, v11
	s_or_b64 s[2:3], s[2:3], vcc
	s_xor_b64 s[46:47], s[46:47], -1
	v_and_b32_e32 v19, 1, v19
	s_nor_b64 s[46:47], s[2:3], s[46:47]
	;; [unrolled: 31-line block ×4, first 2 shown]
	v_cmp_gt_i32_e32 vcc, 0, v18
	v_cmp_eq_u32_e64 s[2:3], 1, v11
	v_or_b32_e32 v11, v17, v12
	s_or_b64 s[2:3], s[2:3], vcc
	s_xor_b64 s[68:69], s[68:69], -1
	v_and_b32_e32 v11, 1, v11
	s_nor_b64 s[68:69], s[2:3], s[68:69]
	v_cmp_eq_u32_e64 s[2:3], 1, v11
	v_or_b32_e32 v11, v17, v13
	s_or_b64 s[2:3], s[2:3], vcc
	s_xor_b64 s[70:71], s[70:71], -1
	v_and_b32_e32 v11, 1, v11
	s_nor_b64 s[70:71], s[2:3], s[70:71]
	v_cmp_eq_u32_e64 s[2:3], 1, v11
	v_ashrrev_i32_e32 v11, 31, v7
	v_xor_b32_e32 v11, s86, v11
	v_xor_b32_e32 v8, v8, v11
	v_sub_u32_e32 v8, v8, v11
	v_mul_lo_u32 v11, v8, s9
	v_mul_lo_u32 v8, v8, s11
	s_or_b64 s[2:3], s[2:3], vcc
	s_xor_b64 s[72:73], s[72:73], -1
	v_sub_u32_e32 v33, v7, v11
	s_nor_b64 s[72:73], s[2:3], s[72:73]
	v_mad_u64_u32 v[7:8], s[2:3], v33, s10, v[8:9]
	v_or_b32_e32 v10, v17, v10
	v_and_b32_e32 v8, 1, v10
	v_mul_lo_u32 v23, s15, v7
	v_cmp_eq_u32_e64 s[2:3], 1, v8
	v_or_b32_e32 v7, v17, v9
	s_or_b64 s[2:3], s[2:3], vcc
	v_add_u32_e32 v8, v18, v23
	v_mul_lo_u32 v24, s14, v8
	v_add_u32_e32 v8, v15, v23
	v_add_u32_e32 v12, v14, v23
	;; [unrolled: 1-line block ×4, first 2 shown]
	v_mul_lo_u32 v25, s14, v8
	v_mul_lo_u32 v26, s14, v12
	;; [unrolled: 1-line block ×4, first 2 shown]
	s_xor_b64 s[74:75], s[74:75], -1
	v_and_b32_e32 v7, 1, v7
	s_nor_b64 s[74:75], s[2:3], s[74:75]
	v_cmp_eq_u32_e64 s[2:3], 1, v7
	v_add_u32_e32 v7, v28, v24
	v_add_u32_e32 v8, v29, v24
	;; [unrolled: 1-line block ×21, first 2 shown]
	v_mul_lo_u32 v2, s88, v33
	s_or_b64 s[2:3], s[2:3], vcc
	s_xor_b64 s[76:77], s[76:77], -1
	v_add_u32_e32 v28, v28, v3
	v_add_u32_e32 v29, v29, v3
	;; [unrolled: 1-line block ×4, first 2 shown]
	s_nor_b64 s[2:3], s[2:3], s[76:77]
	s_mov_b32 s78, 0
	s_mov_b32 s79, s10
	v_mov_b32_e32 v22, 0
	s_branch .LBB29_7
.LBB29_6:                               ;   in Loop: Header=BB29_7 Depth=2
	s_or_b64 exec, exec, s[76:77]
	s_add_i32 s79, s79, -1
	s_add_i32 s78, s78, s89
	s_cmp_eq_u32 s79, 0
	v_add_u32_e32 v2, s87, v2
	s_cbranch_scc1 .LBB29_3
.LBB29_7:                               ;   Parent Loop BB29_4 Depth=1
                                        ; =>  This Inner Loop Header: Depth=2
	v_ashrrev_i32_e32 v3, 31, v2
	s_and_saveexec_b64 s[76:77], s[4:5]
	s_cbranch_execnz .LBB29_32
; %bb.8:                                ;   in Loop: Header=BB29_7 Depth=2
	s_or_b64 exec, exec, s[76:77]
	s_and_saveexec_b64 s[76:77], s[28:29]
	s_cbranch_execnz .LBB29_33
.LBB29_9:                               ;   in Loop: Header=BB29_7 Depth=2
	s_or_b64 exec, exec, s[76:77]
	s_and_saveexec_b64 s[76:77], s[30:31]
	s_cbranch_execnz .LBB29_34
.LBB29_10:                              ;   in Loop: Header=BB29_7 Depth=2
	s_or_b64 exec, exec, s[76:77]
	s_and_saveexec_b64 s[76:77], s[34:35]
	s_cbranch_execnz .LBB29_35
.LBB29_11:                              ;   in Loop: Header=BB29_7 Depth=2
	s_or_b64 exec, exec, s[76:77]
	s_and_saveexec_b64 s[76:77], s[36:37]
	s_cbranch_execnz .LBB29_36
.LBB29_12:                              ;   in Loop: Header=BB29_7 Depth=2
	s_or_b64 exec, exec, s[76:77]
	s_and_saveexec_b64 s[76:77], s[38:39]
	s_cbranch_execnz .LBB29_37
.LBB29_13:                              ;   in Loop: Header=BB29_7 Depth=2
	s_or_b64 exec, exec, s[76:77]
	s_and_saveexec_b64 s[76:77], s[40:41]
	s_cbranch_execnz .LBB29_38
.LBB29_14:                              ;   in Loop: Header=BB29_7 Depth=2
	s_or_b64 exec, exec, s[76:77]
	s_and_saveexec_b64 s[76:77], s[42:43]
	s_cbranch_execnz .LBB29_39
.LBB29_15:                              ;   in Loop: Header=BB29_7 Depth=2
	s_or_b64 exec, exec, s[76:77]
	s_and_saveexec_b64 s[76:77], s[44:45]
	s_cbranch_execnz .LBB29_40
.LBB29_16:                              ;   in Loop: Header=BB29_7 Depth=2
	s_or_b64 exec, exec, s[76:77]
	s_and_saveexec_b64 s[76:77], s[46:47]
	s_cbranch_execnz .LBB29_41
.LBB29_17:                              ;   in Loop: Header=BB29_7 Depth=2
	s_or_b64 exec, exec, s[76:77]
	s_and_saveexec_b64 s[76:77], s[48:49]
	s_cbranch_execnz .LBB29_42
.LBB29_18:                              ;   in Loop: Header=BB29_7 Depth=2
	s_or_b64 exec, exec, s[76:77]
	s_and_saveexec_b64 s[76:77], s[50:51]
	s_cbranch_execnz .LBB29_43
.LBB29_19:                              ;   in Loop: Header=BB29_7 Depth=2
	s_or_b64 exec, exec, s[76:77]
	s_and_saveexec_b64 s[76:77], s[52:53]
	s_cbranch_execnz .LBB29_44
.LBB29_20:                              ;   in Loop: Header=BB29_7 Depth=2
	s_or_b64 exec, exec, s[76:77]
	s_and_saveexec_b64 s[76:77], s[54:55]
	s_cbranch_execnz .LBB29_45
.LBB29_21:                              ;   in Loop: Header=BB29_7 Depth=2
	s_or_b64 exec, exec, s[76:77]
	s_and_saveexec_b64 s[76:77], s[56:57]
	s_cbranch_execnz .LBB29_46
.LBB29_22:                              ;   in Loop: Header=BB29_7 Depth=2
	s_or_b64 exec, exec, s[76:77]
	s_and_saveexec_b64 s[76:77], s[58:59]
	s_cbranch_execnz .LBB29_47
.LBB29_23:                              ;   in Loop: Header=BB29_7 Depth=2
	s_or_b64 exec, exec, s[76:77]
	s_and_saveexec_b64 s[76:77], s[60:61]
	s_cbranch_execnz .LBB29_48
.LBB29_24:                              ;   in Loop: Header=BB29_7 Depth=2
	s_or_b64 exec, exec, s[76:77]
	s_and_saveexec_b64 s[76:77], s[62:63]
	s_cbranch_execnz .LBB29_49
.LBB29_25:                              ;   in Loop: Header=BB29_7 Depth=2
	s_or_b64 exec, exec, s[76:77]
	s_and_saveexec_b64 s[76:77], s[64:65]
	s_cbranch_execnz .LBB29_50
.LBB29_26:                              ;   in Loop: Header=BB29_7 Depth=2
	s_or_b64 exec, exec, s[76:77]
	s_and_saveexec_b64 s[76:77], s[66:67]
	s_cbranch_execnz .LBB29_51
.LBB29_27:                              ;   in Loop: Header=BB29_7 Depth=2
	s_or_b64 exec, exec, s[76:77]
	s_and_saveexec_b64 s[76:77], s[68:69]
	s_cbranch_execnz .LBB29_52
.LBB29_28:                              ;   in Loop: Header=BB29_7 Depth=2
	s_or_b64 exec, exec, s[76:77]
	s_and_saveexec_b64 s[76:77], s[70:71]
	s_cbranch_execnz .LBB29_53
.LBB29_29:                              ;   in Loop: Header=BB29_7 Depth=2
	s_or_b64 exec, exec, s[76:77]
	s_and_saveexec_b64 s[76:77], s[72:73]
	s_cbranch_execnz .LBB29_54
.LBB29_30:                              ;   in Loop: Header=BB29_7 Depth=2
	s_or_b64 exec, exec, s[76:77]
	s_and_saveexec_b64 s[76:77], s[74:75]
	s_cbranch_execnz .LBB29_55
.LBB29_31:                              ;   in Loop: Header=BB29_7 Depth=2
	s_or_b64 exec, exec, s[76:77]
	s_and_saveexec_b64 s[76:77], s[2:3]
	s_cbranch_execz .LBB29_6
	s_branch .LBB29_56
.LBB29_32:                              ;   in Loop: Header=BB29_7 Depth=2
	v_lshlrev_b64 v[34:35], 2, v[2:3]
	v_mov_b32_e32 v36, s25
	v_add_co_u32_e32 v34, vcc, s24, v34
	v_add_u32_e32 v33, s78, v32
	v_addc_co_u32_e32 v35, vcc, v36, v35, vcc
	global_load_dword v35, v[34:35], off
	v_ashrrev_i32_e32 v34, 31, v33
	v_lshlrev_b64 v[33:34], 2, v[33:34]
	v_mov_b32_e32 v36, s21
	v_add_co_u32_e32 v33, vcc, s20, v33
	v_addc_co_u32_e32 v34, vcc, v36, v34, vcc
	global_load_dword v33, v[33:34], off
	s_waitcnt vmcnt(0)
	v_fmac_f32_e32 v22, v35, v33
	s_or_b64 exec, exec, s[76:77]
	s_and_saveexec_b64 s[76:77], s[28:29]
	s_cbranch_execz .LBB29_9
.LBB29_33:                              ;   in Loop: Header=BB29_7 Depth=2
	v_lshlrev_b64 v[34:35], 2, v[2:3]
	v_mov_b32_e32 v36, s25
	v_add_co_u32_e32 v34, vcc, s24, v34
	v_add_u32_e32 v33, s78, v31
	v_addc_co_u32_e32 v35, vcc, v36, v35, vcc
	global_load_dword v35, v[34:35], off offset:4
	v_ashrrev_i32_e32 v34, 31, v33
	v_lshlrev_b64 v[33:34], 2, v[33:34]
	v_mov_b32_e32 v36, s21
	v_add_co_u32_e32 v33, vcc, s20, v33
	v_addc_co_u32_e32 v34, vcc, v36, v34, vcc
	global_load_dword v33, v[33:34], off
	s_waitcnt vmcnt(0)
	v_fmac_f32_e32 v22, v35, v33
	s_or_b64 exec, exec, s[76:77]
	s_and_saveexec_b64 s[76:77], s[30:31]
	s_cbranch_execz .LBB29_10
.LBB29_34:                              ;   in Loop: Header=BB29_7 Depth=2
	v_lshlrev_b64 v[34:35], 2, v[2:3]
	v_mov_b32_e32 v36, s25
	v_add_co_u32_e32 v34, vcc, s24, v34
	v_add_u32_e32 v33, s78, v30
	v_addc_co_u32_e32 v35, vcc, v36, v35, vcc
	global_load_dword v35, v[34:35], off offset:8
	v_ashrrev_i32_e32 v34, 31, v33
	v_lshlrev_b64 v[33:34], 2, v[33:34]
	v_mov_b32_e32 v36, s21
	v_add_co_u32_e32 v33, vcc, s20, v33
	v_addc_co_u32_e32 v34, vcc, v36, v34, vcc
	global_load_dword v33, v[33:34], off
	s_waitcnt vmcnt(0)
	v_fmac_f32_e32 v22, v35, v33
	s_or_b64 exec, exec, s[76:77]
	s_and_saveexec_b64 s[76:77], s[34:35]
	s_cbranch_execz .LBB29_11
.LBB29_35:                              ;   in Loop: Header=BB29_7 Depth=2
	v_lshlrev_b64 v[34:35], 2, v[2:3]
	v_mov_b32_e32 v36, s25
	v_add_co_u32_e32 v34, vcc, s24, v34
	v_add_u32_e32 v33, s78, v29
	v_addc_co_u32_e32 v35, vcc, v36, v35, vcc
	global_load_dword v35, v[34:35], off offset:12
	v_ashrrev_i32_e32 v34, 31, v33
	v_lshlrev_b64 v[33:34], 2, v[33:34]
	v_mov_b32_e32 v36, s21
	v_add_co_u32_e32 v33, vcc, s20, v33
	v_addc_co_u32_e32 v34, vcc, v36, v34, vcc
	global_load_dword v33, v[33:34], off
	s_waitcnt vmcnt(0)
	v_fmac_f32_e32 v22, v35, v33
	s_or_b64 exec, exec, s[76:77]
	s_and_saveexec_b64 s[76:77], s[36:37]
	s_cbranch_execz .LBB29_12
.LBB29_36:                              ;   in Loop: Header=BB29_7 Depth=2
	v_lshlrev_b64 v[34:35], 2, v[2:3]
	v_mov_b32_e32 v36, s25
	v_add_co_u32_e32 v34, vcc, s24, v34
	v_add_u32_e32 v33, s78, v28
	v_addc_co_u32_e32 v35, vcc, v36, v35, vcc
	global_load_dword v35, v[34:35], off offset:16
	v_ashrrev_i32_e32 v34, 31, v33
	v_lshlrev_b64 v[33:34], 2, v[33:34]
	v_mov_b32_e32 v36, s21
	v_add_co_u32_e32 v33, vcc, s20, v33
	v_addc_co_u32_e32 v34, vcc, v36, v34, vcc
	global_load_dword v33, v[33:34], off
	s_waitcnt vmcnt(0)
	v_fmac_f32_e32 v22, v35, v33
	s_or_b64 exec, exec, s[76:77]
	s_and_saveexec_b64 s[76:77], s[38:39]
	s_cbranch_execz .LBB29_13
.LBB29_37:                              ;   in Loop: Header=BB29_7 Depth=2
	v_lshlrev_b64 v[34:35], 2, v[2:3]
	v_mov_b32_e32 v36, s25
	v_add_co_u32_e32 v34, vcc, s24, v34
	v_add_u32_e32 v33, s78, v27
	v_addc_co_u32_e32 v35, vcc, v36, v35, vcc
	global_load_dword v35, v[34:35], off offset:20
	v_ashrrev_i32_e32 v34, 31, v33
	v_lshlrev_b64 v[33:34], 2, v[33:34]
	v_mov_b32_e32 v36, s21
	v_add_co_u32_e32 v33, vcc, s20, v33
	v_addc_co_u32_e32 v34, vcc, v36, v34, vcc
	global_load_dword v33, v[33:34], off
	s_waitcnt vmcnt(0)
	v_fmac_f32_e32 v22, v35, v33
	s_or_b64 exec, exec, s[76:77]
	s_and_saveexec_b64 s[76:77], s[40:41]
	s_cbranch_execz .LBB29_14
.LBB29_38:                              ;   in Loop: Header=BB29_7 Depth=2
	v_lshlrev_b64 v[34:35], 2, v[2:3]
	v_mov_b32_e32 v36, s25
	v_add_co_u32_e32 v34, vcc, s24, v34
	v_add_u32_e32 v33, s78, v26
	v_addc_co_u32_e32 v35, vcc, v36, v35, vcc
	global_load_dword v35, v[34:35], off offset:24
	v_ashrrev_i32_e32 v34, 31, v33
	v_lshlrev_b64 v[33:34], 2, v[33:34]
	v_mov_b32_e32 v36, s21
	v_add_co_u32_e32 v33, vcc, s20, v33
	v_addc_co_u32_e32 v34, vcc, v36, v34, vcc
	global_load_dword v33, v[33:34], off
	s_waitcnt vmcnt(0)
	v_fmac_f32_e32 v22, v35, v33
	s_or_b64 exec, exec, s[76:77]
	s_and_saveexec_b64 s[76:77], s[42:43]
	s_cbranch_execz .LBB29_15
.LBB29_39:                              ;   in Loop: Header=BB29_7 Depth=2
	v_lshlrev_b64 v[34:35], 2, v[2:3]
	v_mov_b32_e32 v36, s25
	v_add_co_u32_e32 v34, vcc, s24, v34
	v_add_u32_e32 v33, s78, v21
	v_addc_co_u32_e32 v35, vcc, v36, v35, vcc
	global_load_dword v35, v[34:35], off offset:28
	v_ashrrev_i32_e32 v34, 31, v33
	v_lshlrev_b64 v[33:34], 2, v[33:34]
	v_mov_b32_e32 v36, s21
	v_add_co_u32_e32 v33, vcc, s20, v33
	v_addc_co_u32_e32 v34, vcc, v36, v34, vcc
	global_load_dword v33, v[33:34], off
	s_waitcnt vmcnt(0)
	v_fmac_f32_e32 v22, v35, v33
	s_or_b64 exec, exec, s[76:77]
	s_and_saveexec_b64 s[76:77], s[44:45]
	s_cbranch_execz .LBB29_16
.LBB29_40:                              ;   in Loop: Header=BB29_7 Depth=2
	v_lshlrev_b64 v[34:35], 2, v[2:3]
	v_mov_b32_e32 v36, s25
	v_add_co_u32_e32 v34, vcc, s24, v34
	v_add_u32_e32 v33, s78, v20
	v_addc_co_u32_e32 v35, vcc, v36, v35, vcc
	global_load_dword v35, v[34:35], off offset:32
	v_ashrrev_i32_e32 v34, 31, v33
	v_lshlrev_b64 v[33:34], 2, v[33:34]
	v_mov_b32_e32 v36, s21
	v_add_co_u32_e32 v33, vcc, s20, v33
	v_addc_co_u32_e32 v34, vcc, v36, v34, vcc
	global_load_dword v33, v[33:34], off
	s_waitcnt vmcnt(0)
	v_fmac_f32_e32 v22, v35, v33
	s_or_b64 exec, exec, s[76:77]
	s_and_saveexec_b64 s[76:77], s[46:47]
	s_cbranch_execz .LBB29_17
.LBB29_41:                              ;   in Loop: Header=BB29_7 Depth=2
	v_lshlrev_b64 v[34:35], 2, v[2:3]
	v_mov_b32_e32 v36, s25
	v_add_co_u32_e32 v34, vcc, s24, v34
	v_add_u32_e32 v33, s78, v19
	v_addc_co_u32_e32 v35, vcc, v36, v35, vcc
	global_load_dword v35, v[34:35], off offset:36
	v_ashrrev_i32_e32 v34, 31, v33
	v_lshlrev_b64 v[33:34], 2, v[33:34]
	v_mov_b32_e32 v36, s21
	v_add_co_u32_e32 v33, vcc, s20, v33
	v_addc_co_u32_e32 v34, vcc, v36, v34, vcc
	global_load_dword v33, v[33:34], off
	s_waitcnt vmcnt(0)
	v_fmac_f32_e32 v22, v35, v33
	s_or_b64 exec, exec, s[76:77]
	s_and_saveexec_b64 s[76:77], s[48:49]
	s_cbranch_execz .LBB29_18
.LBB29_42:                              ;   in Loop: Header=BB29_7 Depth=2
	v_lshlrev_b64 v[34:35], 2, v[2:3]
	v_mov_b32_e32 v36, s25
	v_add_co_u32_e32 v34, vcc, s24, v34
	v_add_u32_e32 v33, s78, v25
	v_addc_co_u32_e32 v35, vcc, v36, v35, vcc
	global_load_dword v35, v[34:35], off offset:40
	v_ashrrev_i32_e32 v34, 31, v33
	v_lshlrev_b64 v[33:34], 2, v[33:34]
	v_mov_b32_e32 v36, s21
	v_add_co_u32_e32 v33, vcc, s20, v33
	v_addc_co_u32_e32 v34, vcc, v36, v34, vcc
	global_load_dword v33, v[33:34], off
	s_waitcnt vmcnt(0)
	v_fmac_f32_e32 v22, v35, v33
	s_or_b64 exec, exec, s[76:77]
	s_and_saveexec_b64 s[76:77], s[50:51]
	s_cbranch_execz .LBB29_19
.LBB29_43:                              ;   in Loop: Header=BB29_7 Depth=2
	v_lshlrev_b64 v[34:35], 2, v[2:3]
	v_mov_b32_e32 v36, s25
	v_add_co_u32_e32 v34, vcc, s24, v34
	v_add_u32_e32 v33, s78, v18
	v_addc_co_u32_e32 v35, vcc, v36, v35, vcc
	global_load_dword v35, v[34:35], off offset:44
	v_ashrrev_i32_e32 v34, 31, v33
	v_lshlrev_b64 v[33:34], 2, v[33:34]
	v_mov_b32_e32 v36, s21
	v_add_co_u32_e32 v33, vcc, s20, v33
	v_addc_co_u32_e32 v34, vcc, v36, v34, vcc
	global_load_dword v33, v[33:34], off
	s_waitcnt vmcnt(0)
	v_fmac_f32_e32 v22, v35, v33
	s_or_b64 exec, exec, s[76:77]
	s_and_saveexec_b64 s[76:77], s[52:53]
	s_cbranch_execz .LBB29_20
.LBB29_44:                              ;   in Loop: Header=BB29_7 Depth=2
	v_lshlrev_b64 v[34:35], 2, v[2:3]
	v_mov_b32_e32 v36, s25
	v_add_co_u32_e32 v34, vcc, s24, v34
	v_add_u32_e32 v33, s78, v17
	v_addc_co_u32_e32 v35, vcc, v36, v35, vcc
	global_load_dword v35, v[34:35], off offset:48
	v_ashrrev_i32_e32 v34, 31, v33
	v_lshlrev_b64 v[33:34], 2, v[33:34]
	v_mov_b32_e32 v36, s21
	v_add_co_u32_e32 v33, vcc, s20, v33
	v_addc_co_u32_e32 v34, vcc, v36, v34, vcc
	global_load_dword v33, v[33:34], off
	s_waitcnt vmcnt(0)
	v_fmac_f32_e32 v22, v35, v33
	s_or_b64 exec, exec, s[76:77]
	s_and_saveexec_b64 s[76:77], s[54:55]
	s_cbranch_execz .LBB29_21
.LBB29_45:                              ;   in Loop: Header=BB29_7 Depth=2
	v_lshlrev_b64 v[34:35], 2, v[2:3]
	v_mov_b32_e32 v36, s25
	v_add_co_u32_e32 v34, vcc, s24, v34
	v_add_u32_e32 v33, s78, v16
	v_addc_co_u32_e32 v35, vcc, v36, v35, vcc
	global_load_dword v35, v[34:35], off offset:52
	v_ashrrev_i32_e32 v34, 31, v33
	v_lshlrev_b64 v[33:34], 2, v[33:34]
	v_mov_b32_e32 v36, s21
	v_add_co_u32_e32 v33, vcc, s20, v33
	v_addc_co_u32_e32 v34, vcc, v36, v34, vcc
	global_load_dword v33, v[33:34], off
	s_waitcnt vmcnt(0)
	v_fmac_f32_e32 v22, v35, v33
	s_or_b64 exec, exec, s[76:77]
	s_and_saveexec_b64 s[76:77], s[56:57]
	s_cbranch_execz .LBB29_22
.LBB29_46:                              ;   in Loop: Header=BB29_7 Depth=2
	v_lshlrev_b64 v[34:35], 2, v[2:3]
	v_mov_b32_e32 v36, s25
	v_add_co_u32_e32 v34, vcc, s24, v34
	v_add_u32_e32 v33, s78, v15
	v_addc_co_u32_e32 v35, vcc, v36, v35, vcc
	global_load_dword v35, v[34:35], off offset:56
	v_ashrrev_i32_e32 v34, 31, v33
	v_lshlrev_b64 v[33:34], 2, v[33:34]
	v_mov_b32_e32 v36, s21
	v_add_co_u32_e32 v33, vcc, s20, v33
	v_addc_co_u32_e32 v34, vcc, v36, v34, vcc
	global_load_dword v33, v[33:34], off
	s_waitcnt vmcnt(0)
	v_fmac_f32_e32 v22, v35, v33
	s_or_b64 exec, exec, s[76:77]
	s_and_saveexec_b64 s[76:77], s[58:59]
	s_cbranch_execz .LBB29_23
.LBB29_47:                              ;   in Loop: Header=BB29_7 Depth=2
	v_lshlrev_b64 v[34:35], 2, v[2:3]
	v_mov_b32_e32 v36, s25
	v_add_co_u32_e32 v34, vcc, s24, v34
	v_add_u32_e32 v33, s78, v24
	v_addc_co_u32_e32 v35, vcc, v36, v35, vcc
	global_load_dword v35, v[34:35], off offset:60
	v_ashrrev_i32_e32 v34, 31, v33
	v_lshlrev_b64 v[33:34], 2, v[33:34]
	v_mov_b32_e32 v36, s21
	v_add_co_u32_e32 v33, vcc, s20, v33
	v_addc_co_u32_e32 v34, vcc, v36, v34, vcc
	global_load_dword v33, v[33:34], off
	s_waitcnt vmcnt(0)
	v_fmac_f32_e32 v22, v35, v33
	s_or_b64 exec, exec, s[76:77]
	s_and_saveexec_b64 s[76:77], s[60:61]
	s_cbranch_execz .LBB29_24
.LBB29_48:                              ;   in Loop: Header=BB29_7 Depth=2
	v_lshlrev_b64 v[34:35], 2, v[2:3]
	v_mov_b32_e32 v36, s25
	v_add_co_u32_e32 v34, vcc, s24, v34
	v_add_u32_e32 v33, s78, v14
	v_addc_co_u32_e32 v35, vcc, v36, v35, vcc
	global_load_dword v35, v[34:35], off offset:64
	v_ashrrev_i32_e32 v34, 31, v33
	v_lshlrev_b64 v[33:34], 2, v[33:34]
	v_mov_b32_e32 v36, s21
	v_add_co_u32_e32 v33, vcc, s20, v33
	v_addc_co_u32_e32 v34, vcc, v36, v34, vcc
	global_load_dword v33, v[33:34], off
	s_waitcnt vmcnt(0)
	v_fmac_f32_e32 v22, v35, v33
	s_or_b64 exec, exec, s[76:77]
	s_and_saveexec_b64 s[76:77], s[62:63]
	s_cbranch_execz .LBB29_25
.LBB29_49:                              ;   in Loop: Header=BB29_7 Depth=2
	v_lshlrev_b64 v[34:35], 2, v[2:3]
	v_mov_b32_e32 v36, s25
	v_add_co_u32_e32 v34, vcc, s24, v34
	v_add_u32_e32 v33, s78, v13
	v_addc_co_u32_e32 v35, vcc, v36, v35, vcc
	global_load_dword v35, v[34:35], off offset:68
	v_ashrrev_i32_e32 v34, 31, v33
	v_lshlrev_b64 v[33:34], 2, v[33:34]
	v_mov_b32_e32 v36, s21
	v_add_co_u32_e32 v33, vcc, s20, v33
	v_addc_co_u32_e32 v34, vcc, v36, v34, vcc
	global_load_dword v33, v[33:34], off
	s_waitcnt vmcnt(0)
	v_fmac_f32_e32 v22, v35, v33
	s_or_b64 exec, exec, s[76:77]
	s_and_saveexec_b64 s[76:77], s[64:65]
	s_cbranch_execz .LBB29_26
.LBB29_50:                              ;   in Loop: Header=BB29_7 Depth=2
	v_lshlrev_b64 v[34:35], 2, v[2:3]
	v_mov_b32_e32 v36, s25
	v_add_co_u32_e32 v34, vcc, s24, v34
	v_add_u32_e32 v33, s78, v12
	v_addc_co_u32_e32 v35, vcc, v36, v35, vcc
	global_load_dword v35, v[34:35], off offset:72
	v_ashrrev_i32_e32 v34, 31, v33
	v_lshlrev_b64 v[33:34], 2, v[33:34]
	v_mov_b32_e32 v36, s21
	v_add_co_u32_e32 v33, vcc, s20, v33
	v_addc_co_u32_e32 v34, vcc, v36, v34, vcc
	global_load_dword v33, v[33:34], off
	s_waitcnt vmcnt(0)
	v_fmac_f32_e32 v22, v35, v33
	s_or_b64 exec, exec, s[76:77]
	s_and_saveexec_b64 s[76:77], s[66:67]
	s_cbranch_execz .LBB29_27
.LBB29_51:                              ;   in Loop: Header=BB29_7 Depth=2
	v_lshlrev_b64 v[34:35], 2, v[2:3]
	v_mov_b32_e32 v36, s25
	v_add_co_u32_e32 v34, vcc, s24, v34
	v_add_u32_e32 v33, s78, v11
	v_addc_co_u32_e32 v35, vcc, v36, v35, vcc
	global_load_dword v35, v[34:35], off offset:76
	v_ashrrev_i32_e32 v34, 31, v33
	v_lshlrev_b64 v[33:34], 2, v[33:34]
	v_mov_b32_e32 v36, s21
	v_add_co_u32_e32 v33, vcc, s20, v33
	v_addc_co_u32_e32 v34, vcc, v36, v34, vcc
	global_load_dword v33, v[33:34], off
	s_waitcnt vmcnt(0)
	v_fmac_f32_e32 v22, v35, v33
	s_or_b64 exec, exec, s[76:77]
	s_and_saveexec_b64 s[76:77], s[68:69]
	s_cbranch_execz .LBB29_28
.LBB29_52:                              ;   in Loop: Header=BB29_7 Depth=2
	v_lshlrev_b64 v[34:35], 2, v[2:3]
	v_mov_b32_e32 v36, s25
	v_add_co_u32_e32 v34, vcc, s24, v34
	v_add_u32_e32 v33, s78, v23
	v_addc_co_u32_e32 v35, vcc, v36, v35, vcc
	global_load_dword v35, v[34:35], off offset:80
	v_ashrrev_i32_e32 v34, 31, v33
	v_lshlrev_b64 v[33:34], 2, v[33:34]
	v_mov_b32_e32 v36, s21
	v_add_co_u32_e32 v33, vcc, s20, v33
	v_addc_co_u32_e32 v34, vcc, v36, v34, vcc
	global_load_dword v33, v[33:34], off
	s_waitcnt vmcnt(0)
	v_fmac_f32_e32 v22, v35, v33
	s_or_b64 exec, exec, s[76:77]
	s_and_saveexec_b64 s[76:77], s[70:71]
	s_cbranch_execz .LBB29_29
.LBB29_53:                              ;   in Loop: Header=BB29_7 Depth=2
	v_lshlrev_b64 v[34:35], 2, v[2:3]
	v_mov_b32_e32 v36, s25
	v_add_co_u32_e32 v34, vcc, s24, v34
	v_add_u32_e32 v33, s78, v10
	v_addc_co_u32_e32 v35, vcc, v36, v35, vcc
	global_load_dword v35, v[34:35], off offset:84
	v_ashrrev_i32_e32 v34, 31, v33
	v_lshlrev_b64 v[33:34], 2, v[33:34]
	v_mov_b32_e32 v36, s21
	v_add_co_u32_e32 v33, vcc, s20, v33
	v_addc_co_u32_e32 v34, vcc, v36, v34, vcc
	global_load_dword v33, v[33:34], off
	s_waitcnt vmcnt(0)
	v_fmac_f32_e32 v22, v35, v33
	s_or_b64 exec, exec, s[76:77]
	s_and_saveexec_b64 s[76:77], s[72:73]
	s_cbranch_execz .LBB29_30
.LBB29_54:                              ;   in Loop: Header=BB29_7 Depth=2
	v_lshlrev_b64 v[34:35], 2, v[2:3]
	v_mov_b32_e32 v36, s25
	v_add_co_u32_e32 v34, vcc, s24, v34
	v_add_u32_e32 v33, s78, v9
	v_addc_co_u32_e32 v35, vcc, v36, v35, vcc
	global_load_dword v35, v[34:35], off offset:88
	v_ashrrev_i32_e32 v34, 31, v33
	v_lshlrev_b64 v[33:34], 2, v[33:34]
	v_mov_b32_e32 v36, s21
	v_add_co_u32_e32 v33, vcc, s20, v33
	v_addc_co_u32_e32 v34, vcc, v36, v34, vcc
	global_load_dword v33, v[33:34], off
	s_waitcnt vmcnt(0)
	v_fmac_f32_e32 v22, v35, v33
	s_or_b64 exec, exec, s[76:77]
	s_and_saveexec_b64 s[76:77], s[74:75]
	s_cbranch_execz .LBB29_31
.LBB29_55:                              ;   in Loop: Header=BB29_7 Depth=2
	v_lshlrev_b64 v[34:35], 2, v[2:3]
	v_mov_b32_e32 v36, s25
	v_add_co_u32_e32 v34, vcc, s24, v34
	v_add_u32_e32 v33, s78, v8
	v_addc_co_u32_e32 v35, vcc, v36, v35, vcc
	global_load_dword v35, v[34:35], off offset:92
	v_ashrrev_i32_e32 v34, 31, v33
	v_lshlrev_b64 v[33:34], 2, v[33:34]
	v_mov_b32_e32 v36, s21
	v_add_co_u32_e32 v33, vcc, s20, v33
	v_addc_co_u32_e32 v34, vcc, v36, v34, vcc
	global_load_dword v33, v[33:34], off
	s_waitcnt vmcnt(0)
	v_fmac_f32_e32 v22, v35, v33
	s_or_b64 exec, exec, s[76:77]
	s_and_saveexec_b64 s[76:77], s[2:3]
	s_cbranch_execz .LBB29_6
.LBB29_56:                              ;   in Loop: Header=BB29_7 Depth=2
	v_lshlrev_b64 v[34:35], 2, v[2:3]
	v_mov_b32_e32 v3, s25
	v_add_co_u32_e32 v34, vcc, s24, v34
	v_add_u32_e32 v33, s78, v7
	v_addc_co_u32_e32 v35, vcc, v3, v35, vcc
	global_load_dword v3, v[34:35], off offset:96
	v_ashrrev_i32_e32 v34, 31, v33
	v_lshlrev_b64 v[33:34], 2, v[33:34]
	v_mov_b32_e32 v35, s21
	v_add_co_u32_e32 v33, vcc, s20, v33
	v_addc_co_u32_e32 v34, vcc, v35, v34, vcc
	global_load_dword v33, v[33:34], off
	s_waitcnt vmcnt(0)
	v_fmac_f32_e32 v22, v3, v33
	s_branch .LBB29_6
.LBB29_57:
	s_endpgm
	.section	.rodata,"a",@progbits
	.p2align	6, 0x0
	.amdhsa_kernel _ZN2at6native12_GLOBAL__N_132conv_depthwise2d_backward_kernelILi5ELi2EfiEEvN5torch10headeronly6detail27GenericPackedTensorAccessorINS5_14TensorAccessorIN3c108ArrayRefIlEEKT1_Lm3ENS4_16DefaultPtrTraitsEiEENS_6detail16IndexBoundsCheckILm4EiEESC_Lm4ESD_iEENS6_INS7_ISA_SB_Lm3ESD_iEESH_SB_Lm4ESD_iEESI_T2_iiiiiiiiiiiiiii
		.amdhsa_group_segment_fixed_size 0
		.amdhsa_private_segment_fixed_size 0
		.amdhsa_kernarg_size 440
		.amdhsa_user_sgpr_count 6
		.amdhsa_user_sgpr_private_segment_buffer 1
		.amdhsa_user_sgpr_dispatch_ptr 0
		.amdhsa_user_sgpr_queue_ptr 0
		.amdhsa_user_sgpr_kernarg_segment_ptr 1
		.amdhsa_user_sgpr_dispatch_id 0
		.amdhsa_user_sgpr_flat_scratch_init 0
		.amdhsa_user_sgpr_private_segment_size 0
		.amdhsa_uses_dynamic_stack 0
		.amdhsa_system_sgpr_private_segment_wavefront_offset 0
		.amdhsa_system_sgpr_workgroup_id_x 1
		.amdhsa_system_sgpr_workgroup_id_y 0
		.amdhsa_system_sgpr_workgroup_id_z 0
		.amdhsa_system_sgpr_workgroup_info 0
		.amdhsa_system_vgpr_workitem_id 0
		.amdhsa_next_free_vgpr 37
		.amdhsa_next_free_sgpr 90
		.amdhsa_reserve_vcc 1
		.amdhsa_reserve_flat_scratch 0
		.amdhsa_float_round_mode_32 0
		.amdhsa_float_round_mode_16_64 0
		.amdhsa_float_denorm_mode_32 3
		.amdhsa_float_denorm_mode_16_64 3
		.amdhsa_dx10_clamp 1
		.amdhsa_ieee_mode 1
		.amdhsa_fp16_overflow 0
		.amdhsa_exception_fp_ieee_invalid_op 0
		.amdhsa_exception_fp_denorm_src 0
		.amdhsa_exception_fp_ieee_div_zero 0
		.amdhsa_exception_fp_ieee_overflow 0
		.amdhsa_exception_fp_ieee_underflow 0
		.amdhsa_exception_fp_ieee_inexact 0
		.amdhsa_exception_int_div_zero 0
	.end_amdhsa_kernel
	.section	.text._ZN2at6native12_GLOBAL__N_132conv_depthwise2d_backward_kernelILi5ELi2EfiEEvN5torch10headeronly6detail27GenericPackedTensorAccessorINS5_14TensorAccessorIN3c108ArrayRefIlEEKT1_Lm3ENS4_16DefaultPtrTraitsEiEENS_6detail16IndexBoundsCheckILm4EiEESC_Lm4ESD_iEENS6_INS7_ISA_SB_Lm3ESD_iEESH_SB_Lm4ESD_iEESI_T2_iiiiiiiiiiiiiii,"axG",@progbits,_ZN2at6native12_GLOBAL__N_132conv_depthwise2d_backward_kernelILi5ELi2EfiEEvN5torch10headeronly6detail27GenericPackedTensorAccessorINS5_14TensorAccessorIN3c108ArrayRefIlEEKT1_Lm3ENS4_16DefaultPtrTraitsEiEENS_6detail16IndexBoundsCheckILm4EiEESC_Lm4ESD_iEENS6_INS7_ISA_SB_Lm3ESD_iEESH_SB_Lm4ESD_iEESI_T2_iiiiiiiiiiiiiii,comdat
.Lfunc_end29:
	.size	_ZN2at6native12_GLOBAL__N_132conv_depthwise2d_backward_kernelILi5ELi2EfiEEvN5torch10headeronly6detail27GenericPackedTensorAccessorINS5_14TensorAccessorIN3c108ArrayRefIlEEKT1_Lm3ENS4_16DefaultPtrTraitsEiEENS_6detail16IndexBoundsCheckILm4EiEESC_Lm4ESD_iEENS6_INS7_ISA_SB_Lm3ESD_iEESH_SB_Lm4ESD_iEESI_T2_iiiiiiiiiiiiiii, .Lfunc_end29-_ZN2at6native12_GLOBAL__N_132conv_depthwise2d_backward_kernelILi5ELi2EfiEEvN5torch10headeronly6detail27GenericPackedTensorAccessorINS5_14TensorAccessorIN3c108ArrayRefIlEEKT1_Lm3ENS4_16DefaultPtrTraitsEiEENS_6detail16IndexBoundsCheckILm4EiEESC_Lm4ESD_iEENS6_INS7_ISA_SB_Lm3ESD_iEESH_SB_Lm4ESD_iEESI_T2_iiiiiiiiiiiiiii
                                        ; -- End function
	.set _ZN2at6native12_GLOBAL__N_132conv_depthwise2d_backward_kernelILi5ELi2EfiEEvN5torch10headeronly6detail27GenericPackedTensorAccessorINS5_14TensorAccessorIN3c108ArrayRefIlEEKT1_Lm3ENS4_16DefaultPtrTraitsEiEENS_6detail16IndexBoundsCheckILm4EiEESC_Lm4ESD_iEENS6_INS7_ISA_SB_Lm3ESD_iEESH_SB_Lm4ESD_iEESI_T2_iiiiiiiiiiiiiii.num_vgpr, 37
	.set _ZN2at6native12_GLOBAL__N_132conv_depthwise2d_backward_kernelILi5ELi2EfiEEvN5torch10headeronly6detail27GenericPackedTensorAccessorINS5_14TensorAccessorIN3c108ArrayRefIlEEKT1_Lm3ENS4_16DefaultPtrTraitsEiEENS_6detail16IndexBoundsCheckILm4EiEESC_Lm4ESD_iEENS6_INS7_ISA_SB_Lm3ESD_iEESH_SB_Lm4ESD_iEESI_T2_iiiiiiiiiiiiiii.num_agpr, 0
	.set _ZN2at6native12_GLOBAL__N_132conv_depthwise2d_backward_kernelILi5ELi2EfiEEvN5torch10headeronly6detail27GenericPackedTensorAccessorINS5_14TensorAccessorIN3c108ArrayRefIlEEKT1_Lm3ENS4_16DefaultPtrTraitsEiEENS_6detail16IndexBoundsCheckILm4EiEESC_Lm4ESD_iEENS6_INS7_ISA_SB_Lm3ESD_iEESH_SB_Lm4ESD_iEESI_T2_iiiiiiiiiiiiiii.numbered_sgpr, 90
	.set _ZN2at6native12_GLOBAL__N_132conv_depthwise2d_backward_kernelILi5ELi2EfiEEvN5torch10headeronly6detail27GenericPackedTensorAccessorINS5_14TensorAccessorIN3c108ArrayRefIlEEKT1_Lm3ENS4_16DefaultPtrTraitsEiEENS_6detail16IndexBoundsCheckILm4EiEESC_Lm4ESD_iEENS6_INS7_ISA_SB_Lm3ESD_iEESH_SB_Lm4ESD_iEESI_T2_iiiiiiiiiiiiiii.num_named_barrier, 0
	.set _ZN2at6native12_GLOBAL__N_132conv_depthwise2d_backward_kernelILi5ELi2EfiEEvN5torch10headeronly6detail27GenericPackedTensorAccessorINS5_14TensorAccessorIN3c108ArrayRefIlEEKT1_Lm3ENS4_16DefaultPtrTraitsEiEENS_6detail16IndexBoundsCheckILm4EiEESC_Lm4ESD_iEENS6_INS7_ISA_SB_Lm3ESD_iEESH_SB_Lm4ESD_iEESI_T2_iiiiiiiiiiiiiii.private_seg_size, 0
	.set _ZN2at6native12_GLOBAL__N_132conv_depthwise2d_backward_kernelILi5ELi2EfiEEvN5torch10headeronly6detail27GenericPackedTensorAccessorINS5_14TensorAccessorIN3c108ArrayRefIlEEKT1_Lm3ENS4_16DefaultPtrTraitsEiEENS_6detail16IndexBoundsCheckILm4EiEESC_Lm4ESD_iEENS6_INS7_ISA_SB_Lm3ESD_iEESH_SB_Lm4ESD_iEESI_T2_iiiiiiiiiiiiiii.uses_vcc, 1
	.set _ZN2at6native12_GLOBAL__N_132conv_depthwise2d_backward_kernelILi5ELi2EfiEEvN5torch10headeronly6detail27GenericPackedTensorAccessorINS5_14TensorAccessorIN3c108ArrayRefIlEEKT1_Lm3ENS4_16DefaultPtrTraitsEiEENS_6detail16IndexBoundsCheckILm4EiEESC_Lm4ESD_iEENS6_INS7_ISA_SB_Lm3ESD_iEESH_SB_Lm4ESD_iEESI_T2_iiiiiiiiiiiiiii.uses_flat_scratch, 0
	.set _ZN2at6native12_GLOBAL__N_132conv_depthwise2d_backward_kernelILi5ELi2EfiEEvN5torch10headeronly6detail27GenericPackedTensorAccessorINS5_14TensorAccessorIN3c108ArrayRefIlEEKT1_Lm3ENS4_16DefaultPtrTraitsEiEENS_6detail16IndexBoundsCheckILm4EiEESC_Lm4ESD_iEENS6_INS7_ISA_SB_Lm3ESD_iEESH_SB_Lm4ESD_iEESI_T2_iiiiiiiiiiiiiii.has_dyn_sized_stack, 0
	.set _ZN2at6native12_GLOBAL__N_132conv_depthwise2d_backward_kernelILi5ELi2EfiEEvN5torch10headeronly6detail27GenericPackedTensorAccessorINS5_14TensorAccessorIN3c108ArrayRefIlEEKT1_Lm3ENS4_16DefaultPtrTraitsEiEENS_6detail16IndexBoundsCheckILm4EiEESC_Lm4ESD_iEENS6_INS7_ISA_SB_Lm3ESD_iEESH_SB_Lm4ESD_iEESI_T2_iiiiiiiiiiiiiii.has_recursion, 0
	.set _ZN2at6native12_GLOBAL__N_132conv_depthwise2d_backward_kernelILi5ELi2EfiEEvN5torch10headeronly6detail27GenericPackedTensorAccessorINS5_14TensorAccessorIN3c108ArrayRefIlEEKT1_Lm3ENS4_16DefaultPtrTraitsEiEENS_6detail16IndexBoundsCheckILm4EiEESC_Lm4ESD_iEENS6_INS7_ISA_SB_Lm3ESD_iEESH_SB_Lm4ESD_iEESI_T2_iiiiiiiiiiiiiii.has_indirect_call, 0
	.section	.AMDGPU.csdata,"",@progbits
; Kernel info:
; codeLenInByte = 4352
; TotalNumSgprs: 94
; NumVgprs: 37
; ScratchSize: 0
; MemoryBound: 0
; FloatMode: 240
; IeeeMode: 1
; LDSByteSize: 0 bytes/workgroup (compile time only)
; SGPRBlocks: 11
; VGPRBlocks: 9
; NumSGPRsForWavesPerEU: 94
; NumVGPRsForWavesPerEU: 37
; Occupancy: 6
; WaveLimiterHint : 0
; COMPUTE_PGM_RSRC2:SCRATCH_EN: 0
; COMPUTE_PGM_RSRC2:USER_SGPR: 6
; COMPUTE_PGM_RSRC2:TRAP_HANDLER: 0
; COMPUTE_PGM_RSRC2:TGID_X_EN: 1
; COMPUTE_PGM_RSRC2:TGID_Y_EN: 0
; COMPUTE_PGM_RSRC2:TGID_Z_EN: 0
; COMPUTE_PGM_RSRC2:TIDIG_COMP_CNT: 0
	.section	.text._ZN2at6native12_GLOBAL__N_132conv_depthwise2d_backward_kernelILi5ELi0EfiEEvN5torch10headeronly6detail27GenericPackedTensorAccessorINS5_14TensorAccessorIN3c108ArrayRefIlEEKT1_Lm3ENS4_16DefaultPtrTraitsEiEENS_6detail16IndexBoundsCheckILm4EiEESC_Lm4ESD_iEENS6_INS7_ISA_SB_Lm3ESD_iEESH_SB_Lm4ESD_iEESI_T2_iiiiiiiiiiiiiii,"axG",@progbits,_ZN2at6native12_GLOBAL__N_132conv_depthwise2d_backward_kernelILi5ELi0EfiEEvN5torch10headeronly6detail27GenericPackedTensorAccessorINS5_14TensorAccessorIN3c108ArrayRefIlEEKT1_Lm3ENS4_16DefaultPtrTraitsEiEENS_6detail16IndexBoundsCheckILm4EiEESC_Lm4ESD_iEENS6_INS7_ISA_SB_Lm3ESD_iEESH_SB_Lm4ESD_iEESI_T2_iiiiiiiiiiiiiii,comdat
	.globl	_ZN2at6native12_GLOBAL__N_132conv_depthwise2d_backward_kernelILi5ELi0EfiEEvN5torch10headeronly6detail27GenericPackedTensorAccessorINS5_14TensorAccessorIN3c108ArrayRefIlEEKT1_Lm3ENS4_16DefaultPtrTraitsEiEENS_6detail16IndexBoundsCheckILm4EiEESC_Lm4ESD_iEENS6_INS7_ISA_SB_Lm3ESD_iEESH_SB_Lm4ESD_iEESI_T2_iiiiiiiiiiiiiii ; -- Begin function _ZN2at6native12_GLOBAL__N_132conv_depthwise2d_backward_kernelILi5ELi0EfiEEvN5torch10headeronly6detail27GenericPackedTensorAccessorINS5_14TensorAccessorIN3c108ArrayRefIlEEKT1_Lm3ENS4_16DefaultPtrTraitsEiEENS_6detail16IndexBoundsCheckILm4EiEESC_Lm4ESD_iEENS6_INS7_ISA_SB_Lm3ESD_iEESH_SB_Lm4ESD_iEESI_T2_iiiiiiiiiiiiiii
	.p2align	8
	.type	_ZN2at6native12_GLOBAL__N_132conv_depthwise2d_backward_kernelILi5ELi0EfiEEvN5torch10headeronly6detail27GenericPackedTensorAccessorINS5_14TensorAccessorIN3c108ArrayRefIlEEKT1_Lm3ENS4_16DefaultPtrTraitsEiEENS_6detail16IndexBoundsCheckILm4EiEESC_Lm4ESD_iEENS6_INS7_ISA_SB_Lm3ESD_iEESH_SB_Lm4ESD_iEESI_T2_iiiiiiiiiiiiiii,@function
_ZN2at6native12_GLOBAL__N_132conv_depthwise2d_backward_kernelILi5ELi0EfiEEvN5torch10headeronly6detail27GenericPackedTensorAccessorINS5_14TensorAccessorIN3c108ArrayRefIlEEKT1_Lm3ENS4_16DefaultPtrTraitsEiEENS_6detail16IndexBoundsCheckILm4EiEESC_Lm4ESD_iEENS6_INS7_ISA_SB_Lm3ESD_iEESH_SB_Lm4ESD_iEESI_T2_iiiiiiiiiiiiiii: ; @_ZN2at6native12_GLOBAL__N_132conv_depthwise2d_backward_kernelILi5ELi0EfiEEvN5torch10headeronly6detail27GenericPackedTensorAccessorINS5_14TensorAccessorIN3c108ArrayRefIlEEKT1_Lm3ENS4_16DefaultPtrTraitsEiEENS_6detail16IndexBoundsCheckILm4EiEESC_Lm4ESD_iEENS6_INS7_ISA_SB_Lm3ESD_iEESH_SB_Lm4ESD_iEESI_T2_iiiiiiiiiiiiiii
; %bb.0:
	s_load_dword s2, s[4:5], 0xc4
	s_load_dwordx16 s[56:71], s[4:5], 0x78
	s_add_u32 s0, s4, 0xb8
	s_addc_u32 s1, s5, 0
	v_mov_b32_e32 v1, 0
	s_waitcnt lgkmcnt(0)
	s_and_b32 s2, s2, 0xffff
	v_mov_b32_e32 v2, s6
	v_mad_u64_u32 v[0:1], s[6:7], s2, v2, v[0:1]
	s_ashr_i32 s7, s56, 31
	s_mov_b32 s6, s56
                                        ; implicit-def: $vgpr44 : SGPR spill to VGPR lane
	v_writelane_b32 v44, s6, 0
	v_cmp_gt_i64_e32 vcc, s[6:7], v[0:1]
	v_writelane_b32 v44, s7, 1
	s_and_saveexec_b64 s[6:7], vcc
	s_cbranch_execz .LBB30_205
; %bb.1:
	s_cmp_gt_i32 s58, 0
	s_load_dword s3, s[0:1], 0x0
	s_cselect_b64 s[0:1], -1, 0
	s_abs_i32 s85, s60
	v_cvt_f32_u32_e32 v2, s85
	s_load_dwordx2 s[74:75], s[4:5], 0x0
	s_load_dwordx2 s[6:7], s[4:5], 0x28
	s_load_dwordx2 s[78:79], s[4:5], 0x50
                                        ; kill: killed $sgpr4 killed $sgpr5
	s_abs_i32 s4, s61
	v_rcp_iflag_f32_e32 v2, v2
	v_cvt_f32_u32_e32 v3, s4
	s_waitcnt lgkmcnt(0)
	v_writelane_b32 v44, s6, 2
	v_writelane_b32 v44, s7, 3
	v_mul_f32_e32 v2, 0x4f7ffffe, v2
	v_rcp_iflag_f32_e32 v3, v3
	v_cvt_u32_f32_e32 v2, v2
	s_mul_i32 s2, s3, s2
	v_writelane_b32 v44, s2, 4
	s_ashr_i32 s2, s60, 31
	s_abs_i32 s3, s57
	v_writelane_b32 v44, s2, 5
	s_sub_i32 s2, 0, s85
	v_mul_f32_e32 v3, 0x4f7ffffe, v3
	v_cvt_f32_u32_e32 v5, s3
	v_mul_lo_u32 v4, s2, v2
	v_cvt_u32_f32_e32 v3, v3
	s_sub_i32 s2, 0, s4
	v_rcp_iflag_f32_e32 v5, v5
	v_mul_hi_u32 v4, v2, v4
	v_mul_lo_u32 v6, s2, v3
	s_abs_i32 s56, s67
	v_mul_f32_e32 v5, 0x4f7ffffe, v5
	v_add_u32_e32 v4, v2, v4
	v_mul_hi_u32 v2, v3, v6
	v_cvt_u32_f32_e32 v6, v5
	v_cvt_f32_u32_e32 v5, s56
	s_abs_i32 s33, s66
	v_cvt_f32_u32_e32 v7, s33
	v_writelane_b32 v44, s4, 6
	v_rcp_iflag_f32_e32 v9, v5
	v_add_u32_e32 v5, v3, v2
	v_rcp_iflag_f32_e32 v2, v7
	s_ashr_i32 s2, s61, 31
	v_writelane_b32 v44, s2, 7
	s_sub_i32 s2, 0, s3
	v_mul_f32_e32 v7, 0x4f7ffffe, v9
	v_mul_lo_u32 v8, s2, v6
	v_cvt_u32_f32_e32 v7, v7
	v_mul_f32_e32 v2, 0x4f7ffffe, v2
	v_cvt_u32_f32_e32 v2, v2
	s_sub_i32 s2, 0, s56
	v_mul_hi_u32 v3, v6, v8
	v_mul_lo_u32 v8, s2, v7
	s_sub_i32 s2, 0, s33
	v_mul_lo_u32 v9, s2, v2
	v_add_u32_e32 v6, v6, v3
	v_mul_hi_u32 v8, v7, v8
	v_writelane_b32 v44, s3, 8
	v_mul_hi_u32 v3, v2, v9
	s_ashr_i32 s2, s57, 31
	v_writelane_b32 v44, s2, 9
	s_ashr_i32 s2, s67, 31
	v_writelane_b32 v44, s2, 10
	v_add_u32_e32 v7, v7, v8
	s_ashr_i32 s2, s66, 31
	v_add_u32_e32 v8, v2, v3
	v_cndmask_b32_e64 v2, 0, 1, s[0:1]
	v_writelane_b32 v44, s2, 11
	v_cmp_ne_u32_e64 s[0:1], 1, v2
	s_mul_i32 s82, s65, s64
	s_mov_b64 s[64:65], 0
	v_writelane_b32 v44, s0, 12
	v_writelane_b32 v44, s1, 13
	s_branch .LBB30_4
.LBB30_2:                               ;   in Loop: Header=BB30_4 Depth=1
	v_mov_b32_e32 v33, 0
.LBB30_3:                               ;   in Loop: Header=BB30_4 Depth=1
	v_readlane_b32 s0, v44, 4
	v_lshlrev_b64 v[2:3], 2, v[0:1]
	v_add_co_u32_e32 v0, vcc, s0, v0
	v_readlane_b32 s0, v44, 0
	v_readlane_b32 s2, v44, 2
	v_addc_co_u32_e32 v1, vcc, 0, v1, vcc
	v_readlane_b32 s1, v44, 1
	v_readlane_b32 s3, v44, 3
	v_cmp_le_i64_e32 vcc, s[0:1], v[0:1]
	v_mov_b32_e32 v9, s3
	v_add_co_u32_e64 v2, s[2:3], s2, v2
	v_addc_co_u32_e64 v3, s[2:3], v9, v3, s[2:3]
	s_or_b64 s[64:65], vcc, s[64:65]
	global_store_dword v[2:3], v33, off
	s_andn2_b64 exec, exec, s[64:65]
	s_cbranch_execz .LBB30_205
.LBB30_4:                               ; =>This Loop Header: Depth=1
                                        ;     Child Loop BB30_9 Depth 2
	v_readlane_b32 s0, v44, 12
	v_readlane_b32 s1, v44, 13
	s_and_b64 vcc, exec, s[0:1]
	s_cbranch_vccnz .LBB30_2
; %bb.5:                                ;   in Loop: Header=BB30_4 Depth=1
	v_sub_u32_e32 v3, 0, v0
	v_max_i32_e32 v3, v0, v3
	v_mul_hi_u32 v9, v3, v4
	v_ashrrev_i32_e32 v2, 31, v0
	v_readlane_b32 s0, v44, 5
	v_xor_b32_e32 v2, s0, v2
	v_mul_lo_u32 v10, v9, s85
	v_readlane_b32 s0, v44, 7
	v_add_u32_e32 v15, s68, v0
	v_readlane_b32 s28, v44, 11
	v_sub_u32_e32 v3, v3, v10
	v_cmp_le_u32_e32 vcc, s85, v3
	v_add_u32_e32 v10, 1, v9
	v_cndmask_b32_e32 v9, v9, v10, vcc
	v_subrev_u32_e32 v10, s85, v3
	v_cndmask_b32_e32 v3, v3, v10, vcc
	v_cmp_le_u32_e32 vcc, s85, v3
	v_add_u32_e32 v3, 1, v9
	v_cndmask_b32_e32 v3, v9, v3, vcc
	v_xor_b32_e32 v3, v3, v2
	v_sub_u32_e32 v2, v3, v2
	v_sub_u32_e32 v9, 0, v2
	v_max_i32_e32 v9, v2, v9
	v_mul_hi_u32 v10, v9, v5
	v_ashrrev_i32_e32 v3, 31, v2
	v_xor_b32_e32 v3, s0, v3
	v_readlane_b32 s0, v44, 6
	v_mul_lo_u32 v11, v10, s0
	v_add_u32_e32 v16, s69, v2
	v_mul_lo_u32 v2, v2, s60
	s_mov_b32 s83, 0
	v_sub_u32_e32 v9, v9, v11
	v_cmp_le_u32_e32 vcc, s0, v9
	v_add_u32_e32 v11, 1, v10
	v_cndmask_b32_e32 v10, v10, v11, vcc
	v_subrev_u32_e32 v11, s0, v9
	v_cndmask_b32_e32 v9, v9, v11, vcc
	v_cmp_le_u32_e32 vcc, s0, v9
	v_add_u32_e32 v9, 1, v10
	v_cndmask_b32_e32 v9, v10, v9, vcc
	v_xor_b32_e32 v9, v9, v3
	v_sub_u32_e32 v3, v9, v3
	v_sub_u32_e32 v10, 0, v3
	v_max_i32_e32 v10, v3, v10
	v_mul_hi_u32 v11, v10, v6
	v_ashrrev_i32_e32 v9, 31, v3
	v_readlane_b32 s0, v44, 9
	v_xor_b32_e32 v9, s0, v9
	v_readlane_b32 s0, v44, 8
	v_mul_lo_u32 v12, v11, s0
	v_mul_lo_u32 v14, v3, s61
	s_mov_b32 s84, s58
	v_sub_u32_e32 v10, v10, v12
	v_cmp_le_u32_e32 vcc, s0, v10
	v_add_u32_e32 v12, 1, v11
	v_cndmask_b32_e32 v11, v11, v12, vcc
	v_subrev_u32_e32 v12, s0, v10
	v_cndmask_b32_e32 v10, v10, v12, vcc
	v_cmp_le_u32_e32 vcc, s0, v10
	v_add_u32_e32 v10, 1, v11
	v_cndmask_b32_e32 v10, v11, v10, vcc
	v_xor_b32_e32 v10, v10, v9
	v_sub_u32_e32 v10, v10, v9
	v_mul_lo_u32 v9, v10, s57
	v_readlane_b32 s0, v44, 10
	v_sub_u32_e32 v9, v3, v9
	v_mul_lo_u32 v3, v10, s59
	v_sub_u32_e32 v10, v16, v14
	v_ashrrev_i32_e32 v11, 31, v10
	v_xor_b32_e32 v29, s0, v11
	v_sub_u32_e32 v11, 0, v10
	v_max_i32_e32 v11, v10, v11
	v_mul_hi_u32 v12, v11, v7
	v_add_u32_e32 v14, s71, v14
	v_mul_lo_u32 v13, v12, s56
	v_sub_u32_e32 v11, v11, v13
	v_cmp_le_u32_e32 vcc, s56, v11
	v_add_u32_e32 v13, 1, v12
	v_cndmask_b32_e32 v12, v12, v13, vcc
	v_subrev_u32_e32 v13, s56, v11
	v_cndmask_b32_e32 v11, v11, v13, vcc
	v_cmp_le_u32_e32 vcc, s56, v11
	v_add_u32_e32 v11, 1, v12
	v_cndmask_b32_e32 v11, v12, v11, vcc
	v_xor_b32_e32 v30, v11, v29
	v_sub_u32_e32 v26, v30, v29
	v_mul_lo_u32 v11, v26, s67
	v_sub_u32_e32 v13, v15, v2
	v_add_u32_e32 v2, s70, v2
	v_sub_u32_e32 v12, v15, v2
	v_add_u32_e32 v2, s70, v2
	v_sub_u32_e32 v10, v10, v11
	v_sub_u32_e32 v11, v15, v2
	v_add_u32_e32 v2, s70, v2
	v_cmp_eq_u32_e32 vcc, 0, v10
	v_sub_u32_e32 v10, v15, v2
	v_add_u32_e32 v2, s70, v2
	v_sub_u32_e32 v2, v15, v2
	v_sub_u32_e32 v15, v16, v14
	v_ashrrev_i32_e32 v17, 31, v15
	v_xor_b32_e32 v24, s0, v17
	v_sub_u32_e32 v17, 0, v15
	v_max_i32_e32 v17, v15, v17
	v_mul_hi_u32 v18, v17, v7
	v_add_u32_e32 v14, s71, v14
	v_cmp_lt_i32_e64 s[12:13], -1, v26
	v_cmp_gt_i32_e64 s[22:23], s63, v26
	v_mul_lo_u32 v19, v18, s56
	v_sub_u32_e32 v38, 0, v10
	v_max_i32_e32 v38, v10, v38
	v_mul_hi_u32 v39, v38, v8
	v_sub_u32_e32 v17, v17, v19
	v_cmp_le_u32_e64 s[2:3], s56, v17
	v_add_u32_e32 v19, 1, v18
	v_cndmask_b32_e64 v18, v18, v19, s[2:3]
	v_subrev_u32_e32 v19, s56, v17
	v_cndmask_b32_e64 v17, v17, v19, s[2:3]
	v_cmp_le_u32_e64 s[2:3], s56, v17
	v_add_u32_e32 v17, 1, v18
	v_cndmask_b32_e64 v17, v18, v17, s[2:3]
	v_xor_b32_e32 v25, v17, v24
	v_sub_u32_e32 v18, v25, v24
	v_mul_lo_u32 v17, v18, s67
	v_mul_lo_u32 v40, v39, s33
	v_sub_u32_e32 v15, v15, v17
	v_cmp_eq_u32_e64 s[2:3], 0, v15
	v_sub_u32_e32 v15, v16, v14
	v_ashrrev_i32_e32 v17, 31, v15
	v_xor_b32_e32 v19, s0, v17
	v_sub_u32_e32 v17, 0, v15
	v_max_i32_e32 v17, v15, v17
	v_mul_hi_u32 v20, v17, v7
	v_sub_u32_e32 v38, v38, v40
	v_subrev_u32_e32 v40, s33, v38
	v_mul_lo_u32 v21, v20, s56
	v_sub_u32_e32 v17, v17, v21
	v_cmp_le_u32_e64 s[4:5], s56, v17
	v_add_u32_e32 v21, 1, v20
	v_cndmask_b32_e64 v20, v20, v21, s[4:5]
	v_subrev_u32_e32 v21, s56, v17
	v_cndmask_b32_e64 v17, v17, v21, s[4:5]
	v_cmp_le_u32_e64 s[4:5], s56, v17
	v_add_u32_e32 v17, 1, v20
	v_cndmask_b32_e64 v17, v20, v17, s[4:5]
	v_xor_b32_e32 v20, v17, v19
	v_sub_u32_e32 v21, v20, v19
	v_mul_lo_u32 v17, v21, s67
	v_sub_u32_e32 v15, v15, v17
	v_add_u32_e32 v17, s71, v14
	v_sub_u32_e32 v23, v16, v17
	v_cmp_eq_u32_e64 s[4:5], 0, v15
	v_sub_u32_e32 v15, 0, v23
	v_max_i32_e32 v15, v23, v15
	v_mul_hi_u32 v22, v15, v7
	v_ashrrev_i32_e32 v14, 31, v23
	v_xor_b32_e32 v14, s0, v14
	v_add_u32_e32 v17, s71, v17
	v_mul_lo_u32 v27, v22, s56
	v_sub_u32_e32 v15, v15, v27
	v_cmp_le_u32_e64 s[6:7], s56, v15
	v_add_u32_e32 v27, 1, v22
	v_cndmask_b32_e64 v22, v22, v27, s[6:7]
	v_subrev_u32_e32 v27, s56, v15
	v_cndmask_b32_e64 v15, v15, v27, s[6:7]
	v_cmp_le_u32_e64 s[6:7], s56, v15
	v_add_u32_e32 v15, 1, v22
	v_cndmask_b32_e64 v15, v22, v15, s[6:7]
	v_xor_b32_e32 v15, v15, v14
	v_sub_u32_e32 v22, v15, v14
	v_mul_lo_u32 v27, v22, s67
	v_sub_u32_e32 v23, v23, v27
	v_sub_u32_e32 v27, v16, v17
	;; [unrolled: 1-line block ×3, first 2 shown]
	v_max_i32_e32 v17, v27, v17
	v_cmp_eq_u32_e64 s[6:7], 0, v23
	v_mul_hi_u32 v23, v17, v7
	v_ashrrev_i32_e32 v16, 31, v27
	v_xor_b32_e32 v16, s0, v16
	v_mul_lo_u32 v28, v23, s56
	v_sub_u32_e32 v17, v17, v28
	v_cmp_le_u32_e64 s[8:9], s56, v17
	v_add_u32_e32 v28, 1, v23
	v_cndmask_b32_e64 v23, v23, v28, s[8:9]
	v_subrev_u32_e32 v28, s56, v17
	v_cndmask_b32_e64 v17, v17, v28, s[8:9]
	v_cmp_le_u32_e64 s[8:9], s56, v17
	v_add_u32_e32 v17, 1, v23
	v_cndmask_b32_e64 v17, v23, v17, s[8:9]
	v_xor_b32_e32 v17, v17, v16
	v_sub_u32_e32 v23, v17, v16
	v_mul_lo_u32 v28, v23, s67
	v_sub_u32_e32 v27, v27, v28
	v_sub_u32_e32 v28, 0, v13
	v_max_i32_e32 v28, v13, v28
	v_mul_hi_u32 v31, v28, v8
	v_cmp_eq_u32_e64 s[8:9], 0, v27
	v_ashrrev_i32_e32 v27, 31, v13
	v_xor_b32_e32 v33, s28, v27
	v_mul_lo_u32 v32, v31, s33
	v_add_u32_e32 v26, 1, v31
	v_sub_u32_e32 v28, v28, v32
	v_cmp_le_u32_e64 s[14:15], s33, v28
	v_subrev_u32_e32 v32, s33, v28
	v_cndmask_b32_e64 v28, v28, v32, s[14:15]
	v_subrev_u32_e32 v32, s33, v28
	v_cmp_le_u32_e64 s[16:17], s33, v28
	v_cndmask_b32_e64 v28, v28, v32, s[16:17]
	v_xor_b32_e32 v28, v28, v27
	v_sub_u32_e32 v28, v28, v27
	v_cmp_eq_u32_e64 s[10:11], 0, v28
	v_sub_u32_e32 v28, 0, v12
	v_max_i32_e32 v28, v12, v28
	v_cndmask_b32_e64 v26, v31, v26, s[14:15]
	v_mul_hi_u32 v31, v28, v8
	v_add_u32_e32 v27, 1, v26
	v_cndmask_b32_e64 v26, v26, v27, s[16:17]
	v_ashrrev_i32_e32 v27, 31, v12
	v_mul_lo_u32 v32, v31, s33
	v_xor_b32_e32 v34, v26, v33
	v_sub_u32_e32 v26, v34, v33
	v_cmp_lt_i32_e64 s[34:35], -1, v26
	v_sub_u32_e32 v28, v28, v32
	v_cmp_le_u32_e64 s[16:17], s33, v28
	v_subrev_u32_e32 v32, s33, v28
	v_cndmask_b32_e64 v28, v28, v32, s[16:17]
	v_subrev_u32_e32 v32, s33, v28
	v_cmp_le_u32_e64 s[18:19], s33, v28
	v_cndmask_b32_e64 v28, v28, v32, s[18:19]
	v_xor_b32_e32 v28, v28, v27
	v_sub_u32_e32 v28, v28, v27
	v_xor_b32_e32 v32, s28, v27
	v_add_u32_e32 v27, 1, v31
	v_cndmask_b32_e64 v27, v31, v27, s[16:17]
	v_sub_u32_e32 v31, 0, v11
	v_max_i32_e32 v31, v11, v31
	v_mul_hi_u32 v36, v31, v8
	v_cmp_gt_i32_e64 s[36:37], s62, v26
	s_and_b64 s[0:1], s[34:35], s[36:37]
	s_and_b64 s[14:15], s[22:23], s[0:1]
	v_mul_lo_u32 v37, v36, s33
	v_writelane_b32 v44, s14, 14
	v_writelane_b32 v44, s15, 15
	v_cmp_eq_u32_e64 s[14:15], 0, v28
	v_add_u32_e32 v28, 1, v27
	v_cndmask_b32_e64 v27, v27, v28, s[18:19]
	v_sub_u32_e32 v31, v31, v37
	v_xor_b32_e32 v35, v27, v32
	v_cmp_le_u32_e64 s[18:19], s33, v31
	v_subrev_u32_e32 v37, s33, v31
	v_sub_u32_e32 v27, v35, v32
	v_cndmask_b32_e64 v31, v31, v37, s[18:19]
	v_cmp_lt_i32_e64 s[38:39], -1, v27
	v_cmp_gt_i32_e64 s[40:41], s62, v27
	v_subrev_u32_e32 v37, s33, v31
	v_cmp_le_u32_e64 s[20:21], s33, v31
	s_and_b64 s[30:31], s[38:39], s[40:41]
	v_ashrrev_i32_e32 v28, 31, v11
	v_cndmask_b32_e64 v31, v31, v37, s[20:21]
	s_and_b64 s[16:17], s[22:23], s[30:31]
	v_xor_b32_e32 v31, v31, v28
	v_writelane_b32 v44, s16, 16
	v_sub_u32_e32 v31, v31, v28
	v_writelane_b32 v44, s17, 17
	v_cmp_eq_u32_e64 s[16:17], 0, v31
	v_xor_b32_e32 v31, s28, v28
	v_add_u32_e32 v28, 1, v36
	v_cndmask_b32_e64 v28, v36, v28, s[18:19]
	v_add_u32_e32 v36, 1, v28
	v_cndmask_b32_e64 v28, v28, v36, s[20:21]
	v_cmp_le_u32_e64 s[20:21], s33, v38
	v_cndmask_b32_e64 v38, v38, v40, s[20:21]
	v_subrev_u32_e32 v40, s33, v38
	v_cmp_le_u32_e64 s[24:25], s33, v38
	v_cndmask_b32_e64 v38, v38, v40, s[24:25]
	v_sub_u32_e32 v40, 0, v2
	v_xor_b32_e32 v36, v28, v31
	v_max_i32_e32 v40, v2, v40
	v_sub_u32_e32 v28, v36, v31
	v_mul_hi_u32 v42, v40, v8
	v_cmp_lt_i32_e64 s[42:43], -1, v28
	v_cmp_gt_i32_e64 s[44:45], s62, v28
	s_and_b64 s[54:55], s[42:43], s[44:45]
	v_ashrrev_i32_e32 v37, 31, v10
	s_and_b64 s[18:19], s[22:23], s[54:55]
	v_xor_b32_e32 v38, v38, v37
	v_writelane_b32 v44, s18, 18
	v_sub_u32_e32 v38, v38, v37
	v_mul_lo_u32 v43, v42, s33
	v_writelane_b32 v44, s19, 19
	v_cmp_eq_u32_e64 s[18:19], 0, v38
	v_add_u32_e32 v38, 1, v39
	v_cndmask_b32_e64 v38, v39, v38, s[20:21]
	v_add_u32_e32 v39, 1, v38
	v_xor_b32_e32 v37, s28, v37
	v_cndmask_b32_e64 v38, v38, v39, s[24:25]
	v_sub_u32_e32 v40, v40, v43
	v_xor_b32_e32 v38, v38, v37
	v_cmp_le_u32_e64 s[24:25], s33, v40
	v_subrev_u32_e32 v43, s33, v40
	v_sub_u32_e32 v41, v38, v37
	v_cndmask_b32_e64 v40, v40, v43, s[24:25]
	v_cmp_lt_i32_e64 s[46:47], -1, v41
	v_cmp_gt_i32_e64 s[48:49], s62, v41
	v_subrev_u32_e32 v43, s33, v40
	v_cmp_le_u32_e64 s[26:27], s33, v40
	s_and_b64 s[72:73], s[46:47], s[48:49]
	v_ashrrev_i32_e32 v39, 31, v2
	v_cndmask_b32_e64 v40, v40, v43, s[26:27]
	s_and_b64 s[20:21], s[22:23], s[72:73]
	v_xor_b32_e32 v40, v40, v39
	v_writelane_b32 v44, s20, 20
	v_sub_u32_e32 v40, v40, v39
	v_writelane_b32 v44, s21, 21
	v_cmp_eq_u32_e64 s[20:21], 0, v40
	v_add_u32_e32 v40, 1, v42
	v_cndmask_b32_e64 v40, v42, v40, s[24:25]
	v_add_u32_e32 v42, 1, v40
	v_xor_b32_e32 v39, s28, v39
	v_cndmask_b32_e64 v40, v40, v42, s[26:27]
	v_xor_b32_e32 v40, v40, v39
	v_sub_u32_e32 v42, v40, v39
	v_cmp_lt_i32_e64 s[50:51], -1, v42
	v_cmp_gt_i32_e64 s[52:53], s62, v42
	s_and_b64 s[76:77], s[50:51], s[52:53]
	s_and_b64 s[22:23], s[22:23], s[76:77]
	v_writelane_b32 v44, s22, 22
	v_cmp_gt_i32_e64 s[24:25], s63, v18
	v_writelane_b32 v44, s23, 23
	s_and_b64 s[26:27], s[24:25], s[0:1]
	v_writelane_b32 v44, s26, 24
	v_writelane_b32 v44, s27, 25
	s_and_b64 s[26:27], s[24:25], s[30:31]
	v_writelane_b32 v44, s26, 26
	;; [unrolled: 3-line block ×5, first 2 shown]
	v_cmp_gt_i32_e64 s[26:27], s63, v21
	v_writelane_b32 v44, s25, 33
	s_and_b64 s[28:29], s[26:27], s[0:1]
	v_writelane_b32 v44, s28, 34
	v_writelane_b32 v44, s29, 35
	s_and_b64 s[28:29], s[26:27], s[30:31]
	v_writelane_b32 v44, s28, 36
	v_cmp_lt_i32_e64 s[22:23], -1, v18
	v_writelane_b32 v44, s29, 37
	s_and_b64 s[28:29], s[26:27], s[54:55]
	v_mul_lo_u32 v18, v26, s66
	v_writelane_b32 v44, s28, 38
	v_writelane_b32 v44, s29, 39
	s_and_b64 s[28:29], s[26:27], s[72:73]
	v_writelane_b32 v44, s28, 40
	v_writelane_b32 v44, s29, 41
	v_cmp_gt_i32_e64 s[28:29], s63, v22
	v_sub_u32_e32 v13, v13, v18
	s_and_b64 s[88:89], s[28:29], s[0:1]
	s_and_b64 s[90:91], s[28:29], s[30:31]
	;; [unrolled: 1-line block ×5, first 2 shown]
	v_cmp_eq_u32_e64 s[28:29], 0, v13
	v_mul_lo_u32 v13, v27, s66
	v_cmp_gt_i32_e64 s[54:55], s63, v23
	s_and_b64 s[36:37], s[36:37], s[54:55]
	s_and_b64 s[72:73], s[36:37], s[34:35]
	v_sub_u32_e32 v12, v12, v13
	v_cmp_eq_u32_e64 s[34:35], 0, v12
	v_mul_lo_u32 v12, v28, s66
	s_and_b64 s[36:37], s[40:41], s[54:55]
	s_and_b64 s[86:87], s[26:27], s[76:77]
	;; [unrolled: 1-line block ×3, first 2 shown]
	v_sub_u32_e32 v11, v11, v12
	v_cmp_eq_u32_e64 s[36:37], 0, v11
	v_mul_lo_u32 v11, v41, s66
	s_and_b64 s[38:39], s[44:45], s[54:55]
	s_and_b64 s[42:43], s[38:39], s[42:43]
	s_and_b64 s[40:41], s[48:49], s[54:55]
	v_sub_u32_e32 v10, v10, v11
	v_cmp_eq_u32_e64 s[38:39], 0, v10
	v_mul_lo_u32 v10, v42, s66
	v_cmp_lt_i32_e64 s[30:31], -1, v23
	s_and_b64 s[44:45], s[40:41], s[46:47]
	v_cmp_lt_i32_e64 s[24:25], -1, v21
	v_sub_u32_e32 v2, v2, v10
	v_cmp_eq_u32_e64 s[40:41], 0, v2
	s_and_b64 s[46:47], s[40:41], s[30:31]
	s_and_b64 s[40:41], s[52:53], s[54:55]
	;; [unrolled: 1-line block ×3, first 2 shown]
	s_mul_i32 s40, s82, s58
	v_mul_lo_u32 v2, s40, v9
	v_mad_u64_u32 v[9:10], s[40:41], v9, s58, v[3:4]
	v_cmp_lt_i32_e64 s[26:27], -1, v22
	v_mul_lo_u32 v3, s63, v9
	v_add_u32_e32 v9, v17, v3
	v_add_u32_e32 v15, v15, v3
	v_add_u32_e32 v20, v20, v3
	v_add_u32_e32 v25, v25, v3
	v_add_u32_e32 v3, v30, v3
	v_sub_u32_e32 v9, v9, v16
	v_sub_u32_e32 v14, v15, v14
	v_sub_u32_e32 v19, v20, v19
	v_sub_u32_e32 v24, v25, v24
	v_sub_u32_e32 v3, v3, v29
	v_mul_lo_u32 v13, s62, v9
	v_mul_lo_u32 v18, s62, v14
	;; [unrolled: 1-line block ×5, first 2 shown]
	v_add_u32_e32 v9, v40, v13
	v_add_u32_e32 v10, v38, v13
	;; [unrolled: 1-line block ×25, first 2 shown]
	v_sub_u32_e32 v9, v9, v39
	v_sub_u32_e32 v10, v10, v37
	;; [unrolled: 1-line block ×25, first 2 shown]
	v_mov_b32_e32 v33, 0
	s_branch .LBB30_9
.LBB30_6:                               ;   in Loop: Header=BB30_9 Depth=2
	s_or_b64 exec, exec, s[54:55]
.LBB30_7:                               ;   in Loop: Header=BB30_9 Depth=2
	s_or_b64 exec, exec, s[52:53]
.LBB30_8:                               ;   in Loop: Header=BB30_9 Depth=2
	s_or_b64 exec, exec, s[50:51]
	s_mul_i32 s40, s63, s62
	s_add_i32 s84, s84, -1
	s_add_i32 s83, s83, s40
	s_cmp_eq_u32 s84, 0
	v_add_u32_e32 v2, s82, v2
	s_cbranch_scc1 .LBB30_3
.LBB30_9:                               ;   Parent Loop BB30_4 Depth=1
                                        ; =>  This Inner Loop Header: Depth=2
	s_and_saveexec_b64 s[50:51], vcc
	s_cbranch_execnz .LBB30_34
; %bb.10:                               ;   in Loop: Header=BB30_9 Depth=2
	s_or_b64 exec, exec, s[50:51]
	s_and_saveexec_b64 s[50:51], vcc
	s_cbranch_execnz .LBB30_41
.LBB30_11:                              ;   in Loop: Header=BB30_9 Depth=2
	s_or_b64 exec, exec, s[50:51]
	s_and_saveexec_b64 s[50:51], vcc
	s_cbranch_execnz .LBB30_48
.LBB30_12:                              ;   in Loop: Header=BB30_9 Depth=2
	s_or_b64 exec, exec, s[50:51]
	s_and_saveexec_b64 s[50:51], vcc
	s_cbranch_execnz .LBB30_55
.LBB30_13:                              ;   in Loop: Header=BB30_9 Depth=2
	s_or_b64 exec, exec, s[50:51]
	s_and_saveexec_b64 s[50:51], vcc
	s_cbranch_execnz .LBB30_62
.LBB30_14:                              ;   in Loop: Header=BB30_9 Depth=2
	s_or_b64 exec, exec, s[50:51]
	s_and_saveexec_b64 s[50:51], s[2:3]
	s_cbranch_execnz .LBB30_69
.LBB30_15:                              ;   in Loop: Header=BB30_9 Depth=2
	s_or_b64 exec, exec, s[50:51]
	s_and_saveexec_b64 s[50:51], s[2:3]
	s_cbranch_execnz .LBB30_76
.LBB30_16:                              ;   in Loop: Header=BB30_9 Depth=2
	s_or_b64 exec, exec, s[50:51]
	s_and_saveexec_b64 s[50:51], s[2:3]
	s_cbranch_execnz .LBB30_83
.LBB30_17:                              ;   in Loop: Header=BB30_9 Depth=2
	s_or_b64 exec, exec, s[50:51]
	s_and_saveexec_b64 s[50:51], s[2:3]
	s_cbranch_execnz .LBB30_90
.LBB30_18:                              ;   in Loop: Header=BB30_9 Depth=2
	s_or_b64 exec, exec, s[50:51]
	s_and_saveexec_b64 s[50:51], s[2:3]
	s_cbranch_execnz .LBB30_97
.LBB30_19:                              ;   in Loop: Header=BB30_9 Depth=2
	s_or_b64 exec, exec, s[50:51]
	s_and_saveexec_b64 s[50:51], s[4:5]
	s_cbranch_execnz .LBB30_104
.LBB30_20:                              ;   in Loop: Header=BB30_9 Depth=2
	s_or_b64 exec, exec, s[50:51]
	s_and_saveexec_b64 s[50:51], s[4:5]
	s_cbranch_execnz .LBB30_111
.LBB30_21:                              ;   in Loop: Header=BB30_9 Depth=2
	s_or_b64 exec, exec, s[50:51]
	s_and_saveexec_b64 s[50:51], s[4:5]
	s_cbranch_execnz .LBB30_118
.LBB30_22:                              ;   in Loop: Header=BB30_9 Depth=2
	s_or_b64 exec, exec, s[50:51]
	s_and_saveexec_b64 s[50:51], s[4:5]
	s_cbranch_execnz .LBB30_125
.LBB30_23:                              ;   in Loop: Header=BB30_9 Depth=2
	s_or_b64 exec, exec, s[50:51]
	s_and_saveexec_b64 s[50:51], s[4:5]
	s_cbranch_execnz .LBB30_132
.LBB30_24:                              ;   in Loop: Header=BB30_9 Depth=2
	s_or_b64 exec, exec, s[50:51]
	s_and_saveexec_b64 s[50:51], s[6:7]
	s_cbranch_execnz .LBB30_139
.LBB30_25:                              ;   in Loop: Header=BB30_9 Depth=2
	s_or_b64 exec, exec, s[50:51]
	s_and_saveexec_b64 s[50:51], s[6:7]
	s_cbranch_execnz .LBB30_146
.LBB30_26:                              ;   in Loop: Header=BB30_9 Depth=2
	s_or_b64 exec, exec, s[50:51]
	s_and_saveexec_b64 s[50:51], s[6:7]
	s_cbranch_execnz .LBB30_153
.LBB30_27:                              ;   in Loop: Header=BB30_9 Depth=2
	s_or_b64 exec, exec, s[50:51]
	s_and_saveexec_b64 s[50:51], s[6:7]
	s_cbranch_execnz .LBB30_160
.LBB30_28:                              ;   in Loop: Header=BB30_9 Depth=2
	s_or_b64 exec, exec, s[50:51]
	s_and_saveexec_b64 s[50:51], s[6:7]
	s_cbranch_execnz .LBB30_167
.LBB30_29:                              ;   in Loop: Header=BB30_9 Depth=2
	s_or_b64 exec, exec, s[50:51]
	s_and_saveexec_b64 s[50:51], s[8:9]
	s_cbranch_execnz .LBB30_174
.LBB30_30:                              ;   in Loop: Header=BB30_9 Depth=2
	s_or_b64 exec, exec, s[50:51]
	s_and_saveexec_b64 s[50:51], s[8:9]
	s_cbranch_execnz .LBB30_181
.LBB30_31:                              ;   in Loop: Header=BB30_9 Depth=2
	s_or_b64 exec, exec, s[50:51]
	s_and_saveexec_b64 s[50:51], s[8:9]
	s_cbranch_execnz .LBB30_188
.LBB30_32:                              ;   in Loop: Header=BB30_9 Depth=2
	s_or_b64 exec, exec, s[50:51]
	s_and_saveexec_b64 s[50:51], s[8:9]
	s_cbranch_execnz .LBB30_195
.LBB30_33:                              ;   in Loop: Header=BB30_9 Depth=2
	s_or_b64 exec, exec, s[50:51]
	s_and_saveexec_b64 s[50:51], s[8:9]
	s_cbranch_execz .LBB30_8
	s_branch .LBB30_202
.LBB30_34:                              ;   in Loop: Header=BB30_9 Depth=2
	s_and_saveexec_b64 s[52:53], s[10:11]
	s_cbranch_execz .LBB30_40
; %bb.35:                               ;   in Loop: Header=BB30_9 Depth=2
	s_and_saveexec_b64 s[54:55], s[12:13]
	s_cbranch_execz .LBB30_39
; %bb.36:                               ;   in Loop: Header=BB30_9 Depth=2
	s_mov_b64 s[80:81], exec
	v_readlane_b32 s40, v44, 14
	v_readlane_b32 s41, v44, 15
	s_and_b64 s[40:41], s[80:81], s[40:41]
	s_mov_b64 exec, s[40:41]
	s_cbranch_execz .LBB30_38
; %bb.37:                               ;   in Loop: Header=BB30_9 Depth=2
	v_ashrrev_i32_e32 v3, 31, v2
	v_lshlrev_b64 v[36:37], 2, v[2:3]
	v_mov_b32_e32 v3, s79
	v_add_co_u32_e64 v36, s[40:41], s78, v36
	v_add_u32_e32 v35, s83, v34
	v_addc_co_u32_e64 v37, s[40:41], v3, v37, s[40:41]
	global_load_dword v3, v[36:37], off
	v_ashrrev_i32_e32 v36, 31, v35
	v_lshlrev_b64 v[35:36], 2, v[35:36]
	v_mov_b32_e32 v37, s75
	v_add_co_u32_e64 v35, s[40:41], s74, v35
	v_addc_co_u32_e64 v36, s[40:41], v37, v36, s[40:41]
	global_load_dword v35, v[35:36], off
	s_waitcnt vmcnt(0)
	v_fmac_f32_e32 v33, v3, v35
.LBB30_38:                              ;   in Loop: Header=BB30_9 Depth=2
	s_or_b64 exec, exec, s[80:81]
.LBB30_39:                              ;   in Loop: Header=BB30_9 Depth=2
	s_or_b64 exec, exec, s[54:55]
.LBB30_40:                              ;   in Loop: Header=BB30_9 Depth=2
	s_or_b64 exec, exec, s[52:53]
	s_or_b64 exec, exec, s[50:51]
	s_and_saveexec_b64 s[50:51], vcc
	s_cbranch_execz .LBB30_11
.LBB30_41:                              ;   in Loop: Header=BB30_9 Depth=2
	s_and_saveexec_b64 s[52:53], s[14:15]
	s_cbranch_execz .LBB30_47
; %bb.42:                               ;   in Loop: Header=BB30_9 Depth=2
	s_and_saveexec_b64 s[54:55], s[12:13]
	s_cbranch_execz .LBB30_46
; %bb.43:                               ;   in Loop: Header=BB30_9 Depth=2
	s_mov_b64 s[80:81], exec
	v_readlane_b32 s40, v44, 16
	v_readlane_b32 s41, v44, 17
	s_and_b64 s[40:41], s[80:81], s[40:41]
	s_mov_b64 exec, s[40:41]
	s_cbranch_execz .LBB30_45
; %bb.44:                               ;   in Loop: Header=BB30_9 Depth=2
	v_ashrrev_i32_e32 v3, 31, v2
	v_lshlrev_b64 v[36:37], 2, v[2:3]
	v_mov_b32_e32 v3, s79
	v_add_co_u32_e64 v36, s[40:41], s78, v36
	v_add_u32_e32 v35, s83, v32
	v_addc_co_u32_e64 v37, s[40:41], v3, v37, s[40:41]
	global_load_dword v3, v[36:37], off offset:4
	v_ashrrev_i32_e32 v36, 31, v35
	v_lshlrev_b64 v[35:36], 2, v[35:36]
	v_mov_b32_e32 v37, s75
	v_add_co_u32_e64 v35, s[40:41], s74, v35
	v_addc_co_u32_e64 v36, s[40:41], v37, v36, s[40:41]
	global_load_dword v35, v[35:36], off
	s_waitcnt vmcnt(0)
	v_fmac_f32_e32 v33, v3, v35
.LBB30_45:                              ;   in Loop: Header=BB30_9 Depth=2
	s_or_b64 exec, exec, s[80:81]
.LBB30_46:                              ;   in Loop: Header=BB30_9 Depth=2
	s_or_b64 exec, exec, s[54:55]
.LBB30_47:                              ;   in Loop: Header=BB30_9 Depth=2
	s_or_b64 exec, exec, s[52:53]
	s_or_b64 exec, exec, s[50:51]
	s_and_saveexec_b64 s[50:51], vcc
	s_cbranch_execz .LBB30_12
.LBB30_48:                              ;   in Loop: Header=BB30_9 Depth=2
	s_and_saveexec_b64 s[52:53], s[16:17]
	s_cbranch_execz .LBB30_54
; %bb.49:                               ;   in Loop: Header=BB30_9 Depth=2
	s_and_saveexec_b64 s[54:55], s[12:13]
	s_cbranch_execz .LBB30_53
; %bb.50:                               ;   in Loop: Header=BB30_9 Depth=2
	s_mov_b64 s[80:81], exec
	v_readlane_b32 s40, v44, 18
	v_readlane_b32 s41, v44, 19
	s_and_b64 s[40:41], s[80:81], s[40:41]
	s_mov_b64 exec, s[40:41]
	s_cbranch_execz .LBB30_52
; %bb.51:                               ;   in Loop: Header=BB30_9 Depth=2
	v_ashrrev_i32_e32 v3, 31, v2
	v_lshlrev_b64 v[36:37], 2, v[2:3]
	v_mov_b32_e32 v3, s79
	v_add_co_u32_e64 v36, s[40:41], s78, v36
	v_add_u32_e32 v35, s83, v31
	v_addc_co_u32_e64 v37, s[40:41], v3, v37, s[40:41]
	global_load_dword v3, v[36:37], off offset:8
	v_ashrrev_i32_e32 v36, 31, v35
	v_lshlrev_b64 v[35:36], 2, v[35:36]
	v_mov_b32_e32 v37, s75
	v_add_co_u32_e64 v35, s[40:41], s74, v35
	v_addc_co_u32_e64 v36, s[40:41], v37, v36, s[40:41]
	global_load_dword v35, v[35:36], off
	s_waitcnt vmcnt(0)
	v_fmac_f32_e32 v33, v3, v35
.LBB30_52:                              ;   in Loop: Header=BB30_9 Depth=2
	s_or_b64 exec, exec, s[80:81]
.LBB30_53:                              ;   in Loop: Header=BB30_9 Depth=2
	s_or_b64 exec, exec, s[54:55]
.LBB30_54:                              ;   in Loop: Header=BB30_9 Depth=2
	s_or_b64 exec, exec, s[52:53]
	s_or_b64 exec, exec, s[50:51]
	s_and_saveexec_b64 s[50:51], vcc
	s_cbranch_execz .LBB30_13
.LBB30_55:                              ;   in Loop: Header=BB30_9 Depth=2
	s_and_saveexec_b64 s[52:53], s[18:19]
	s_cbranch_execz .LBB30_61
; %bb.56:                               ;   in Loop: Header=BB30_9 Depth=2
	s_and_saveexec_b64 s[54:55], s[12:13]
	s_cbranch_execz .LBB30_60
; %bb.57:                               ;   in Loop: Header=BB30_9 Depth=2
	s_mov_b64 s[80:81], exec
	v_readlane_b32 s40, v44, 20
	v_readlane_b32 s41, v44, 21
	s_and_b64 s[40:41], s[80:81], s[40:41]
	s_mov_b64 exec, s[40:41]
	s_cbranch_execz .LBB30_59
; %bb.58:                               ;   in Loop: Header=BB30_9 Depth=2
	v_ashrrev_i32_e32 v3, 31, v2
	v_lshlrev_b64 v[36:37], 2, v[2:3]
	v_mov_b32_e32 v3, s79
	v_add_co_u32_e64 v36, s[40:41], s78, v36
	v_add_u32_e32 v35, s83, v30
	v_addc_co_u32_e64 v37, s[40:41], v3, v37, s[40:41]
	global_load_dword v3, v[36:37], off offset:12
	v_ashrrev_i32_e32 v36, 31, v35
	v_lshlrev_b64 v[35:36], 2, v[35:36]
	v_mov_b32_e32 v37, s75
	v_add_co_u32_e64 v35, s[40:41], s74, v35
	v_addc_co_u32_e64 v36, s[40:41], v37, v36, s[40:41]
	global_load_dword v35, v[35:36], off
	s_waitcnt vmcnt(0)
	v_fmac_f32_e32 v33, v3, v35
.LBB30_59:                              ;   in Loop: Header=BB30_9 Depth=2
	s_or_b64 exec, exec, s[80:81]
.LBB30_60:                              ;   in Loop: Header=BB30_9 Depth=2
	s_or_b64 exec, exec, s[54:55]
.LBB30_61:                              ;   in Loop: Header=BB30_9 Depth=2
	s_or_b64 exec, exec, s[52:53]
	s_or_b64 exec, exec, s[50:51]
	s_and_saveexec_b64 s[50:51], vcc
	s_cbranch_execz .LBB30_14
.LBB30_62:                              ;   in Loop: Header=BB30_9 Depth=2
	s_and_saveexec_b64 s[52:53], s[20:21]
	s_cbranch_execz .LBB30_68
; %bb.63:                               ;   in Loop: Header=BB30_9 Depth=2
	s_and_saveexec_b64 s[54:55], s[12:13]
	s_cbranch_execz .LBB30_67
; %bb.64:                               ;   in Loop: Header=BB30_9 Depth=2
	s_mov_b64 s[80:81], exec
	v_readlane_b32 s40, v44, 22
	v_readlane_b32 s41, v44, 23
	s_and_b64 s[40:41], s[80:81], s[40:41]
	s_mov_b64 exec, s[40:41]
	s_cbranch_execz .LBB30_66
; %bb.65:                               ;   in Loop: Header=BB30_9 Depth=2
	v_ashrrev_i32_e32 v3, 31, v2
	v_lshlrev_b64 v[36:37], 2, v[2:3]
	v_mov_b32_e32 v3, s79
	v_add_co_u32_e64 v36, s[40:41], s78, v36
	v_add_u32_e32 v35, s83, v29
	v_addc_co_u32_e64 v37, s[40:41], v3, v37, s[40:41]
	global_load_dword v3, v[36:37], off offset:16
	v_ashrrev_i32_e32 v36, 31, v35
	v_lshlrev_b64 v[35:36], 2, v[35:36]
	v_mov_b32_e32 v37, s75
	v_add_co_u32_e64 v35, s[40:41], s74, v35
	v_addc_co_u32_e64 v36, s[40:41], v37, v36, s[40:41]
	global_load_dword v35, v[35:36], off
	s_waitcnt vmcnt(0)
	v_fmac_f32_e32 v33, v3, v35
.LBB30_66:                              ;   in Loop: Header=BB30_9 Depth=2
	s_or_b64 exec, exec, s[80:81]
.LBB30_67:                              ;   in Loop: Header=BB30_9 Depth=2
	s_or_b64 exec, exec, s[54:55]
.LBB30_68:                              ;   in Loop: Header=BB30_9 Depth=2
	s_or_b64 exec, exec, s[52:53]
	s_or_b64 exec, exec, s[50:51]
	s_and_saveexec_b64 s[50:51], s[2:3]
	s_cbranch_execz .LBB30_15
.LBB30_69:                              ;   in Loop: Header=BB30_9 Depth=2
	s_and_saveexec_b64 s[52:53], s[10:11]
	s_cbranch_execz .LBB30_75
; %bb.70:                               ;   in Loop: Header=BB30_9 Depth=2
	s_and_saveexec_b64 s[54:55], s[22:23]
	s_cbranch_execz .LBB30_74
; %bb.71:                               ;   in Loop: Header=BB30_9 Depth=2
	s_mov_b64 s[80:81], exec
	v_readlane_b32 s40, v44, 24
	v_readlane_b32 s41, v44, 25
	s_and_b64 s[40:41], s[80:81], s[40:41]
	s_mov_b64 exec, s[40:41]
	s_cbranch_execz .LBB30_73
; %bb.72:                               ;   in Loop: Header=BB30_9 Depth=2
	v_ashrrev_i32_e32 v3, 31, v2
	v_lshlrev_b64 v[36:37], 2, v[2:3]
	v_mov_b32_e32 v3, s79
	v_add_co_u32_e64 v36, s[40:41], s78, v36
	v_add_u32_e32 v35, s83, v28
	v_addc_co_u32_e64 v37, s[40:41], v3, v37, s[40:41]
	global_load_dword v3, v[36:37], off offset:20
	v_ashrrev_i32_e32 v36, 31, v35
	v_lshlrev_b64 v[35:36], 2, v[35:36]
	v_mov_b32_e32 v37, s75
	v_add_co_u32_e64 v35, s[40:41], s74, v35
	v_addc_co_u32_e64 v36, s[40:41], v37, v36, s[40:41]
	global_load_dword v35, v[35:36], off
	s_waitcnt vmcnt(0)
	v_fmac_f32_e32 v33, v3, v35
.LBB30_73:                              ;   in Loop: Header=BB30_9 Depth=2
	s_or_b64 exec, exec, s[80:81]
.LBB30_74:                              ;   in Loop: Header=BB30_9 Depth=2
	s_or_b64 exec, exec, s[54:55]
.LBB30_75:                              ;   in Loop: Header=BB30_9 Depth=2
	s_or_b64 exec, exec, s[52:53]
	s_or_b64 exec, exec, s[50:51]
	s_and_saveexec_b64 s[50:51], s[2:3]
	s_cbranch_execz .LBB30_16
.LBB30_76:                              ;   in Loop: Header=BB30_9 Depth=2
	s_and_saveexec_b64 s[52:53], s[14:15]
	s_cbranch_execz .LBB30_82
; %bb.77:                               ;   in Loop: Header=BB30_9 Depth=2
	s_and_saveexec_b64 s[54:55], s[22:23]
	s_cbranch_execz .LBB30_81
; %bb.78:                               ;   in Loop: Header=BB30_9 Depth=2
	s_mov_b64 s[80:81], exec
	v_readlane_b32 s40, v44, 26
	v_readlane_b32 s41, v44, 27
	s_and_b64 s[40:41], s[80:81], s[40:41]
	s_mov_b64 exec, s[40:41]
	s_cbranch_execz .LBB30_80
; %bb.79:                               ;   in Loop: Header=BB30_9 Depth=2
	v_ashrrev_i32_e32 v3, 31, v2
	v_lshlrev_b64 v[36:37], 2, v[2:3]
	v_mov_b32_e32 v3, s79
	v_add_co_u32_e64 v36, s[40:41], s78, v36
	v_add_u32_e32 v35, s83, v27
	v_addc_co_u32_e64 v37, s[40:41], v3, v37, s[40:41]
	global_load_dword v3, v[36:37], off offset:24
	v_ashrrev_i32_e32 v36, 31, v35
	v_lshlrev_b64 v[35:36], 2, v[35:36]
	v_mov_b32_e32 v37, s75
	v_add_co_u32_e64 v35, s[40:41], s74, v35
	v_addc_co_u32_e64 v36, s[40:41], v37, v36, s[40:41]
	global_load_dword v35, v[35:36], off
	s_waitcnt vmcnt(0)
	v_fmac_f32_e32 v33, v3, v35
.LBB30_80:                              ;   in Loop: Header=BB30_9 Depth=2
	s_or_b64 exec, exec, s[80:81]
.LBB30_81:                              ;   in Loop: Header=BB30_9 Depth=2
	s_or_b64 exec, exec, s[54:55]
.LBB30_82:                              ;   in Loop: Header=BB30_9 Depth=2
	s_or_b64 exec, exec, s[52:53]
	s_or_b64 exec, exec, s[50:51]
	s_and_saveexec_b64 s[50:51], s[2:3]
	s_cbranch_execz .LBB30_17
.LBB30_83:                              ;   in Loop: Header=BB30_9 Depth=2
	s_and_saveexec_b64 s[52:53], s[16:17]
	s_cbranch_execz .LBB30_89
; %bb.84:                               ;   in Loop: Header=BB30_9 Depth=2
	s_and_saveexec_b64 s[54:55], s[22:23]
	s_cbranch_execz .LBB30_88
; %bb.85:                               ;   in Loop: Header=BB30_9 Depth=2
	s_mov_b64 s[80:81], exec
	v_readlane_b32 s40, v44, 28
	v_readlane_b32 s41, v44, 29
	s_and_b64 s[40:41], s[80:81], s[40:41]
	s_mov_b64 exec, s[40:41]
	s_cbranch_execz .LBB30_87
; %bb.86:                               ;   in Loop: Header=BB30_9 Depth=2
	v_ashrrev_i32_e32 v3, 31, v2
	v_lshlrev_b64 v[36:37], 2, v[2:3]
	v_mov_b32_e32 v3, s79
	v_add_co_u32_e64 v36, s[40:41], s78, v36
	v_add_u32_e32 v35, s83, v26
	v_addc_co_u32_e64 v37, s[40:41], v3, v37, s[40:41]
	global_load_dword v3, v[36:37], off offset:28
	v_ashrrev_i32_e32 v36, 31, v35
	v_lshlrev_b64 v[35:36], 2, v[35:36]
	v_mov_b32_e32 v37, s75
	v_add_co_u32_e64 v35, s[40:41], s74, v35
	v_addc_co_u32_e64 v36, s[40:41], v37, v36, s[40:41]
	global_load_dword v35, v[35:36], off
	s_waitcnt vmcnt(0)
	v_fmac_f32_e32 v33, v3, v35
.LBB30_87:                              ;   in Loop: Header=BB30_9 Depth=2
	s_or_b64 exec, exec, s[80:81]
.LBB30_88:                              ;   in Loop: Header=BB30_9 Depth=2
	s_or_b64 exec, exec, s[54:55]
.LBB30_89:                              ;   in Loop: Header=BB30_9 Depth=2
	s_or_b64 exec, exec, s[52:53]
	s_or_b64 exec, exec, s[50:51]
	s_and_saveexec_b64 s[50:51], s[2:3]
	s_cbranch_execz .LBB30_18
.LBB30_90:                              ;   in Loop: Header=BB30_9 Depth=2
	s_and_saveexec_b64 s[52:53], s[18:19]
	s_cbranch_execz .LBB30_96
; %bb.91:                               ;   in Loop: Header=BB30_9 Depth=2
	s_and_saveexec_b64 s[54:55], s[22:23]
	s_cbranch_execz .LBB30_95
; %bb.92:                               ;   in Loop: Header=BB30_9 Depth=2
	s_mov_b64 s[80:81], exec
	v_readlane_b32 s40, v44, 30
	v_readlane_b32 s41, v44, 31
	s_and_b64 s[40:41], s[80:81], s[40:41]
	s_mov_b64 exec, s[40:41]
	s_cbranch_execz .LBB30_94
; %bb.93:                               ;   in Loop: Header=BB30_9 Depth=2
	v_ashrrev_i32_e32 v3, 31, v2
	v_lshlrev_b64 v[36:37], 2, v[2:3]
	v_mov_b32_e32 v3, s79
	v_add_co_u32_e64 v36, s[40:41], s78, v36
	v_add_u32_e32 v35, s83, v25
	v_addc_co_u32_e64 v37, s[40:41], v3, v37, s[40:41]
	global_load_dword v3, v[36:37], off offset:32
	v_ashrrev_i32_e32 v36, 31, v35
	v_lshlrev_b64 v[35:36], 2, v[35:36]
	v_mov_b32_e32 v37, s75
	v_add_co_u32_e64 v35, s[40:41], s74, v35
	v_addc_co_u32_e64 v36, s[40:41], v37, v36, s[40:41]
	global_load_dword v35, v[35:36], off
	s_waitcnt vmcnt(0)
	v_fmac_f32_e32 v33, v3, v35
.LBB30_94:                              ;   in Loop: Header=BB30_9 Depth=2
	s_or_b64 exec, exec, s[80:81]
.LBB30_95:                              ;   in Loop: Header=BB30_9 Depth=2
	s_or_b64 exec, exec, s[54:55]
.LBB30_96:                              ;   in Loop: Header=BB30_9 Depth=2
	s_or_b64 exec, exec, s[52:53]
	s_or_b64 exec, exec, s[50:51]
	s_and_saveexec_b64 s[50:51], s[2:3]
	s_cbranch_execz .LBB30_19
.LBB30_97:                              ;   in Loop: Header=BB30_9 Depth=2
	s_and_saveexec_b64 s[52:53], s[20:21]
	s_cbranch_execz .LBB30_103
; %bb.98:                               ;   in Loop: Header=BB30_9 Depth=2
	s_and_saveexec_b64 s[54:55], s[22:23]
	s_cbranch_execz .LBB30_102
; %bb.99:                               ;   in Loop: Header=BB30_9 Depth=2
	s_mov_b64 s[80:81], exec
	v_readlane_b32 s40, v44, 32
	v_readlane_b32 s41, v44, 33
	s_and_b64 s[40:41], s[80:81], s[40:41]
	s_mov_b64 exec, s[40:41]
	s_cbranch_execz .LBB30_101
; %bb.100:                              ;   in Loop: Header=BB30_9 Depth=2
	v_ashrrev_i32_e32 v3, 31, v2
	v_lshlrev_b64 v[36:37], 2, v[2:3]
	v_mov_b32_e32 v3, s79
	v_add_co_u32_e64 v36, s[40:41], s78, v36
	v_add_u32_e32 v35, s83, v24
	v_addc_co_u32_e64 v37, s[40:41], v3, v37, s[40:41]
	global_load_dword v3, v[36:37], off offset:36
	v_ashrrev_i32_e32 v36, 31, v35
	v_lshlrev_b64 v[35:36], 2, v[35:36]
	v_mov_b32_e32 v37, s75
	v_add_co_u32_e64 v35, s[40:41], s74, v35
	v_addc_co_u32_e64 v36, s[40:41], v37, v36, s[40:41]
	global_load_dword v35, v[35:36], off
	s_waitcnt vmcnt(0)
	v_fmac_f32_e32 v33, v3, v35
.LBB30_101:                             ;   in Loop: Header=BB30_9 Depth=2
	s_or_b64 exec, exec, s[80:81]
.LBB30_102:                             ;   in Loop: Header=BB30_9 Depth=2
	s_or_b64 exec, exec, s[54:55]
.LBB30_103:                             ;   in Loop: Header=BB30_9 Depth=2
	s_or_b64 exec, exec, s[52:53]
	s_or_b64 exec, exec, s[50:51]
	s_and_saveexec_b64 s[50:51], s[4:5]
	s_cbranch_execz .LBB30_20
.LBB30_104:                             ;   in Loop: Header=BB30_9 Depth=2
	s_and_saveexec_b64 s[52:53], s[10:11]
	s_cbranch_execz .LBB30_110
; %bb.105:                              ;   in Loop: Header=BB30_9 Depth=2
	s_and_saveexec_b64 s[54:55], s[24:25]
	s_cbranch_execz .LBB30_109
; %bb.106:                              ;   in Loop: Header=BB30_9 Depth=2
	s_mov_b64 s[80:81], exec
	v_readlane_b32 s40, v44, 34
	v_readlane_b32 s41, v44, 35
	s_and_b64 s[40:41], s[80:81], s[40:41]
	s_mov_b64 exec, s[40:41]
	s_cbranch_execz .LBB30_108
; %bb.107:                              ;   in Loop: Header=BB30_9 Depth=2
	v_ashrrev_i32_e32 v3, 31, v2
	v_lshlrev_b64 v[36:37], 2, v[2:3]
	v_mov_b32_e32 v3, s79
	v_add_co_u32_e64 v36, s[40:41], s78, v36
	v_add_u32_e32 v35, s83, v23
	v_addc_co_u32_e64 v37, s[40:41], v3, v37, s[40:41]
	global_load_dword v3, v[36:37], off offset:40
	v_ashrrev_i32_e32 v36, 31, v35
	v_lshlrev_b64 v[35:36], 2, v[35:36]
	v_mov_b32_e32 v37, s75
	v_add_co_u32_e64 v35, s[40:41], s74, v35
	v_addc_co_u32_e64 v36, s[40:41], v37, v36, s[40:41]
	global_load_dword v35, v[35:36], off
	s_waitcnt vmcnt(0)
	v_fmac_f32_e32 v33, v3, v35
.LBB30_108:                             ;   in Loop: Header=BB30_9 Depth=2
	s_or_b64 exec, exec, s[80:81]
.LBB30_109:                             ;   in Loop: Header=BB30_9 Depth=2
	s_or_b64 exec, exec, s[54:55]
.LBB30_110:                             ;   in Loop: Header=BB30_9 Depth=2
	s_or_b64 exec, exec, s[52:53]
	s_or_b64 exec, exec, s[50:51]
	s_and_saveexec_b64 s[50:51], s[4:5]
	s_cbranch_execz .LBB30_21
.LBB30_111:                             ;   in Loop: Header=BB30_9 Depth=2
	s_and_saveexec_b64 s[52:53], s[14:15]
	s_cbranch_execz .LBB30_117
; %bb.112:                              ;   in Loop: Header=BB30_9 Depth=2
	s_and_saveexec_b64 s[54:55], s[24:25]
	s_cbranch_execz .LBB30_116
; %bb.113:                              ;   in Loop: Header=BB30_9 Depth=2
	s_mov_b64 s[80:81], exec
	v_readlane_b32 s40, v44, 36
	v_readlane_b32 s41, v44, 37
	s_and_b64 s[40:41], s[80:81], s[40:41]
	s_mov_b64 exec, s[40:41]
	s_cbranch_execz .LBB30_115
; %bb.114:                              ;   in Loop: Header=BB30_9 Depth=2
	v_ashrrev_i32_e32 v3, 31, v2
	v_lshlrev_b64 v[36:37], 2, v[2:3]
	v_mov_b32_e32 v3, s79
	v_add_co_u32_e64 v36, s[40:41], s78, v36
	v_add_u32_e32 v35, s83, v22
	v_addc_co_u32_e64 v37, s[40:41], v3, v37, s[40:41]
	global_load_dword v3, v[36:37], off offset:44
	v_ashrrev_i32_e32 v36, 31, v35
	v_lshlrev_b64 v[35:36], 2, v[35:36]
	v_mov_b32_e32 v37, s75
	v_add_co_u32_e64 v35, s[40:41], s74, v35
	v_addc_co_u32_e64 v36, s[40:41], v37, v36, s[40:41]
	global_load_dword v35, v[35:36], off
	s_waitcnt vmcnt(0)
	v_fmac_f32_e32 v33, v3, v35
.LBB30_115:                             ;   in Loop: Header=BB30_9 Depth=2
	s_or_b64 exec, exec, s[80:81]
.LBB30_116:                             ;   in Loop: Header=BB30_9 Depth=2
	s_or_b64 exec, exec, s[54:55]
.LBB30_117:                             ;   in Loop: Header=BB30_9 Depth=2
	s_or_b64 exec, exec, s[52:53]
	s_or_b64 exec, exec, s[50:51]
	s_and_saveexec_b64 s[50:51], s[4:5]
	s_cbranch_execz .LBB30_22
.LBB30_118:                             ;   in Loop: Header=BB30_9 Depth=2
	s_and_saveexec_b64 s[52:53], s[16:17]
	s_cbranch_execz .LBB30_124
; %bb.119:                              ;   in Loop: Header=BB30_9 Depth=2
	s_and_saveexec_b64 s[54:55], s[24:25]
	s_cbranch_execz .LBB30_123
; %bb.120:                              ;   in Loop: Header=BB30_9 Depth=2
	s_mov_b64 s[80:81], exec
	v_readlane_b32 s40, v44, 38
	v_readlane_b32 s41, v44, 39
	s_and_b64 s[40:41], s[80:81], s[40:41]
	s_mov_b64 exec, s[40:41]
	s_cbranch_execz .LBB30_122
; %bb.121:                              ;   in Loop: Header=BB30_9 Depth=2
	v_ashrrev_i32_e32 v3, 31, v2
	v_lshlrev_b64 v[36:37], 2, v[2:3]
	v_mov_b32_e32 v3, s79
	v_add_co_u32_e64 v36, s[40:41], s78, v36
	v_add_u32_e32 v35, s83, v21
	v_addc_co_u32_e64 v37, s[40:41], v3, v37, s[40:41]
	global_load_dword v3, v[36:37], off offset:48
	v_ashrrev_i32_e32 v36, 31, v35
	v_lshlrev_b64 v[35:36], 2, v[35:36]
	v_mov_b32_e32 v37, s75
	v_add_co_u32_e64 v35, s[40:41], s74, v35
	v_addc_co_u32_e64 v36, s[40:41], v37, v36, s[40:41]
	global_load_dword v35, v[35:36], off
	s_waitcnt vmcnt(0)
	v_fmac_f32_e32 v33, v3, v35
.LBB30_122:                             ;   in Loop: Header=BB30_9 Depth=2
	s_or_b64 exec, exec, s[80:81]
.LBB30_123:                             ;   in Loop: Header=BB30_9 Depth=2
	s_or_b64 exec, exec, s[54:55]
.LBB30_124:                             ;   in Loop: Header=BB30_9 Depth=2
	s_or_b64 exec, exec, s[52:53]
	s_or_b64 exec, exec, s[50:51]
	s_and_saveexec_b64 s[50:51], s[4:5]
	s_cbranch_execz .LBB30_23
.LBB30_125:                             ;   in Loop: Header=BB30_9 Depth=2
	s_and_saveexec_b64 s[52:53], s[18:19]
	s_cbranch_execz .LBB30_131
; %bb.126:                              ;   in Loop: Header=BB30_9 Depth=2
	s_and_saveexec_b64 s[54:55], s[24:25]
	s_cbranch_execz .LBB30_130
; %bb.127:                              ;   in Loop: Header=BB30_9 Depth=2
	s_mov_b64 s[80:81], exec
	v_readlane_b32 s40, v44, 40
	v_readlane_b32 s41, v44, 41
	s_and_b64 s[40:41], s[80:81], s[40:41]
	s_mov_b64 exec, s[40:41]
	s_cbranch_execz .LBB30_129
; %bb.128:                              ;   in Loop: Header=BB30_9 Depth=2
	v_ashrrev_i32_e32 v3, 31, v2
	v_lshlrev_b64 v[36:37], 2, v[2:3]
	v_mov_b32_e32 v3, s79
	v_add_co_u32_e64 v36, s[40:41], s78, v36
	v_add_u32_e32 v35, s83, v20
	v_addc_co_u32_e64 v37, s[40:41], v3, v37, s[40:41]
	global_load_dword v3, v[36:37], off offset:52
	v_ashrrev_i32_e32 v36, 31, v35
	v_lshlrev_b64 v[35:36], 2, v[35:36]
	v_mov_b32_e32 v37, s75
	v_add_co_u32_e64 v35, s[40:41], s74, v35
	v_addc_co_u32_e64 v36, s[40:41], v37, v36, s[40:41]
	global_load_dword v35, v[35:36], off
	s_waitcnt vmcnt(0)
	v_fmac_f32_e32 v33, v3, v35
.LBB30_129:                             ;   in Loop: Header=BB30_9 Depth=2
	s_or_b64 exec, exec, s[80:81]
.LBB30_130:                             ;   in Loop: Header=BB30_9 Depth=2
	s_or_b64 exec, exec, s[54:55]
.LBB30_131:                             ;   in Loop: Header=BB30_9 Depth=2
	s_or_b64 exec, exec, s[52:53]
	s_or_b64 exec, exec, s[50:51]
	s_and_saveexec_b64 s[50:51], s[4:5]
	s_cbranch_execz .LBB30_24
.LBB30_132:                             ;   in Loop: Header=BB30_9 Depth=2
	s_and_saveexec_b64 s[52:53], s[20:21]
	s_cbranch_execz .LBB30_138
; %bb.133:                              ;   in Loop: Header=BB30_9 Depth=2
	s_and_saveexec_b64 s[54:55], s[24:25]
	s_cbranch_execz .LBB30_137
; %bb.134:                              ;   in Loop: Header=BB30_9 Depth=2
	;; [unrolled: 3-line block ×3, first 2 shown]
	v_ashrrev_i32_e32 v3, 31, v2
	v_lshlrev_b64 v[36:37], 2, v[2:3]
	v_mov_b32_e32 v3, s79
	v_add_co_u32_e64 v36, s[40:41], s78, v36
	v_add_u32_e32 v35, s83, v19
	v_addc_co_u32_e64 v37, s[40:41], v3, v37, s[40:41]
	global_load_dword v3, v[36:37], off offset:56
	v_ashrrev_i32_e32 v36, 31, v35
	v_lshlrev_b64 v[35:36], 2, v[35:36]
	v_mov_b32_e32 v37, s75
	v_add_co_u32_e64 v35, s[40:41], s74, v35
	v_addc_co_u32_e64 v36, s[40:41], v37, v36, s[40:41]
	global_load_dword v35, v[35:36], off
	s_waitcnt vmcnt(0)
	v_fmac_f32_e32 v33, v3, v35
.LBB30_136:                             ;   in Loop: Header=BB30_9 Depth=2
	s_or_b64 exec, exec, s[80:81]
.LBB30_137:                             ;   in Loop: Header=BB30_9 Depth=2
	s_or_b64 exec, exec, s[54:55]
.LBB30_138:                             ;   in Loop: Header=BB30_9 Depth=2
	s_or_b64 exec, exec, s[52:53]
	s_or_b64 exec, exec, s[50:51]
	s_and_saveexec_b64 s[50:51], s[6:7]
	s_cbranch_execz .LBB30_25
.LBB30_139:                             ;   in Loop: Header=BB30_9 Depth=2
	s_and_saveexec_b64 s[52:53], s[10:11]
	s_cbranch_execz .LBB30_145
; %bb.140:                              ;   in Loop: Header=BB30_9 Depth=2
	s_and_saveexec_b64 s[54:55], s[26:27]
	s_cbranch_execz .LBB30_144
; %bb.141:                              ;   in Loop: Header=BB30_9 Depth=2
	s_and_saveexec_b64 s[80:81], s[88:89]
	s_cbranch_execz .LBB30_143
; %bb.142:                              ;   in Loop: Header=BB30_9 Depth=2
	v_ashrrev_i32_e32 v3, 31, v2
	v_lshlrev_b64 v[36:37], 2, v[2:3]
	v_mov_b32_e32 v3, s79
	v_add_co_u32_e64 v36, s[40:41], s78, v36
	v_add_u32_e32 v35, s83, v18
	v_addc_co_u32_e64 v37, s[40:41], v3, v37, s[40:41]
	global_load_dword v3, v[36:37], off offset:60
	v_ashrrev_i32_e32 v36, 31, v35
	v_lshlrev_b64 v[35:36], 2, v[35:36]
	v_mov_b32_e32 v37, s75
	v_add_co_u32_e64 v35, s[40:41], s74, v35
	v_addc_co_u32_e64 v36, s[40:41], v37, v36, s[40:41]
	global_load_dword v35, v[35:36], off
	s_waitcnt vmcnt(0)
	v_fmac_f32_e32 v33, v3, v35
.LBB30_143:                             ;   in Loop: Header=BB30_9 Depth=2
	s_or_b64 exec, exec, s[80:81]
.LBB30_144:                             ;   in Loop: Header=BB30_9 Depth=2
	s_or_b64 exec, exec, s[54:55]
.LBB30_145:                             ;   in Loop: Header=BB30_9 Depth=2
	s_or_b64 exec, exec, s[52:53]
	s_or_b64 exec, exec, s[50:51]
	s_and_saveexec_b64 s[50:51], s[6:7]
	s_cbranch_execz .LBB30_26
.LBB30_146:                             ;   in Loop: Header=BB30_9 Depth=2
	s_and_saveexec_b64 s[52:53], s[14:15]
	s_cbranch_execz .LBB30_152
; %bb.147:                              ;   in Loop: Header=BB30_9 Depth=2
	s_and_saveexec_b64 s[54:55], s[26:27]
	s_cbranch_execz .LBB30_151
; %bb.148:                              ;   in Loop: Header=BB30_9 Depth=2
	;; [unrolled: 3-line block ×3, first 2 shown]
	v_ashrrev_i32_e32 v3, 31, v2
	v_lshlrev_b64 v[36:37], 2, v[2:3]
	v_mov_b32_e32 v3, s79
	v_add_co_u32_e64 v36, s[40:41], s78, v36
	v_add_u32_e32 v35, s83, v17
	v_addc_co_u32_e64 v37, s[40:41], v3, v37, s[40:41]
	global_load_dword v3, v[36:37], off offset:64
	v_ashrrev_i32_e32 v36, 31, v35
	v_lshlrev_b64 v[35:36], 2, v[35:36]
	v_mov_b32_e32 v37, s75
	v_add_co_u32_e64 v35, s[40:41], s74, v35
	v_addc_co_u32_e64 v36, s[40:41], v37, v36, s[40:41]
	global_load_dword v35, v[35:36], off
	s_waitcnt vmcnt(0)
	v_fmac_f32_e32 v33, v3, v35
.LBB30_150:                             ;   in Loop: Header=BB30_9 Depth=2
	s_or_b64 exec, exec, s[80:81]
.LBB30_151:                             ;   in Loop: Header=BB30_9 Depth=2
	s_or_b64 exec, exec, s[54:55]
.LBB30_152:                             ;   in Loop: Header=BB30_9 Depth=2
	s_or_b64 exec, exec, s[52:53]
	s_or_b64 exec, exec, s[50:51]
	s_and_saveexec_b64 s[50:51], s[6:7]
	s_cbranch_execz .LBB30_27
.LBB30_153:                             ;   in Loop: Header=BB30_9 Depth=2
	s_and_saveexec_b64 s[52:53], s[16:17]
	s_cbranch_execz .LBB30_159
; %bb.154:                              ;   in Loop: Header=BB30_9 Depth=2
	s_and_saveexec_b64 s[54:55], s[26:27]
	s_cbranch_execz .LBB30_158
; %bb.155:                              ;   in Loop: Header=BB30_9 Depth=2
	;; [unrolled: 3-line block ×3, first 2 shown]
	v_ashrrev_i32_e32 v3, 31, v2
	v_lshlrev_b64 v[36:37], 2, v[2:3]
	v_mov_b32_e32 v3, s79
	v_add_co_u32_e64 v36, s[40:41], s78, v36
	v_add_u32_e32 v35, s83, v16
	v_addc_co_u32_e64 v37, s[40:41], v3, v37, s[40:41]
	global_load_dword v3, v[36:37], off offset:68
	v_ashrrev_i32_e32 v36, 31, v35
	v_lshlrev_b64 v[35:36], 2, v[35:36]
	v_mov_b32_e32 v37, s75
	v_add_co_u32_e64 v35, s[40:41], s74, v35
	v_addc_co_u32_e64 v36, s[40:41], v37, v36, s[40:41]
	global_load_dword v35, v[35:36], off
	s_waitcnt vmcnt(0)
	v_fmac_f32_e32 v33, v3, v35
.LBB30_157:                             ;   in Loop: Header=BB30_9 Depth=2
	s_or_b64 exec, exec, s[80:81]
.LBB30_158:                             ;   in Loop: Header=BB30_9 Depth=2
	s_or_b64 exec, exec, s[54:55]
.LBB30_159:                             ;   in Loop: Header=BB30_9 Depth=2
	s_or_b64 exec, exec, s[52:53]
	s_or_b64 exec, exec, s[50:51]
	s_and_saveexec_b64 s[50:51], s[6:7]
	s_cbranch_execz .LBB30_28
.LBB30_160:                             ;   in Loop: Header=BB30_9 Depth=2
	s_and_saveexec_b64 s[52:53], s[18:19]
	s_cbranch_execz .LBB30_166
; %bb.161:                              ;   in Loop: Header=BB30_9 Depth=2
	s_and_saveexec_b64 s[54:55], s[26:27]
	s_cbranch_execz .LBB30_165
; %bb.162:                              ;   in Loop: Header=BB30_9 Depth=2
	s_and_saveexec_b64 s[80:81], s[94:95]
	s_cbranch_execz .LBB30_164
; %bb.163:                              ;   in Loop: Header=BB30_9 Depth=2
	v_ashrrev_i32_e32 v3, 31, v2
	v_lshlrev_b64 v[36:37], 2, v[2:3]
	v_mov_b32_e32 v3, s79
	v_add_co_u32_e64 v36, s[40:41], s78, v36
	v_add_u32_e32 v35, s83, v15
	v_addc_co_u32_e64 v37, s[40:41], v3, v37, s[40:41]
	global_load_dword v3, v[36:37], off offset:72
	v_ashrrev_i32_e32 v36, 31, v35
	v_lshlrev_b64 v[35:36], 2, v[35:36]
	v_mov_b32_e32 v37, s75
	v_add_co_u32_e64 v35, s[40:41], s74, v35
	v_addc_co_u32_e64 v36, s[40:41], v37, v36, s[40:41]
	global_load_dword v35, v[35:36], off
	s_waitcnt vmcnt(0)
	v_fmac_f32_e32 v33, v3, v35
.LBB30_164:                             ;   in Loop: Header=BB30_9 Depth=2
	s_or_b64 exec, exec, s[80:81]
.LBB30_165:                             ;   in Loop: Header=BB30_9 Depth=2
	s_or_b64 exec, exec, s[54:55]
.LBB30_166:                             ;   in Loop: Header=BB30_9 Depth=2
	s_or_b64 exec, exec, s[52:53]
	s_or_b64 exec, exec, s[50:51]
	s_and_saveexec_b64 s[50:51], s[6:7]
	s_cbranch_execz .LBB30_29
.LBB30_167:                             ;   in Loop: Header=BB30_9 Depth=2
	s_and_saveexec_b64 s[52:53], s[20:21]
	s_cbranch_execz .LBB30_173
; %bb.168:                              ;   in Loop: Header=BB30_9 Depth=2
	s_and_saveexec_b64 s[54:55], s[26:27]
	s_cbranch_execz .LBB30_172
; %bb.169:                              ;   in Loop: Header=BB30_9 Depth=2
	;; [unrolled: 3-line block ×3, first 2 shown]
	v_ashrrev_i32_e32 v3, 31, v2
	v_lshlrev_b64 v[36:37], 2, v[2:3]
	v_mov_b32_e32 v3, s79
	v_add_co_u32_e64 v36, s[40:41], s78, v36
	v_add_u32_e32 v35, s83, v14
	v_addc_co_u32_e64 v37, s[40:41], v3, v37, s[40:41]
	global_load_dword v3, v[36:37], off offset:76
	v_ashrrev_i32_e32 v36, 31, v35
	v_lshlrev_b64 v[35:36], 2, v[35:36]
	v_mov_b32_e32 v37, s75
	v_add_co_u32_e64 v35, s[40:41], s74, v35
	v_addc_co_u32_e64 v36, s[40:41], v37, v36, s[40:41]
	global_load_dword v35, v[35:36], off
	s_waitcnt vmcnt(0)
	v_fmac_f32_e32 v33, v3, v35
.LBB30_171:                             ;   in Loop: Header=BB30_9 Depth=2
	s_or_b64 exec, exec, s[80:81]
.LBB30_172:                             ;   in Loop: Header=BB30_9 Depth=2
	s_or_b64 exec, exec, s[54:55]
.LBB30_173:                             ;   in Loop: Header=BB30_9 Depth=2
	s_or_b64 exec, exec, s[52:53]
	s_or_b64 exec, exec, s[50:51]
	s_and_saveexec_b64 s[50:51], s[8:9]
	s_cbranch_execz .LBB30_30
.LBB30_174:                             ;   in Loop: Header=BB30_9 Depth=2
	s_and_saveexec_b64 s[52:53], s[28:29]
	s_cbranch_execz .LBB30_180
; %bb.175:                              ;   in Loop: Header=BB30_9 Depth=2
	s_and_saveexec_b64 s[54:55], s[30:31]
	s_cbranch_execz .LBB30_179
; %bb.176:                              ;   in Loop: Header=BB30_9 Depth=2
	;; [unrolled: 3-line block ×3, first 2 shown]
	v_ashrrev_i32_e32 v3, 31, v2
	v_lshlrev_b64 v[36:37], 2, v[2:3]
	v_mov_b32_e32 v3, s79
	v_add_co_u32_e64 v36, s[40:41], s78, v36
	v_add_u32_e32 v35, s83, v13
	v_addc_co_u32_e64 v37, s[40:41], v3, v37, s[40:41]
	global_load_dword v3, v[36:37], off offset:80
	v_ashrrev_i32_e32 v36, 31, v35
	v_lshlrev_b64 v[35:36], 2, v[35:36]
	v_mov_b32_e32 v37, s75
	v_add_co_u32_e64 v35, s[40:41], s74, v35
	v_addc_co_u32_e64 v36, s[40:41], v37, v36, s[40:41]
	global_load_dword v35, v[35:36], off
	s_waitcnt vmcnt(0)
	v_fmac_f32_e32 v33, v3, v35
.LBB30_178:                             ;   in Loop: Header=BB30_9 Depth=2
	s_or_b64 exec, exec, s[80:81]
.LBB30_179:                             ;   in Loop: Header=BB30_9 Depth=2
	s_or_b64 exec, exec, s[54:55]
.LBB30_180:                             ;   in Loop: Header=BB30_9 Depth=2
	s_or_b64 exec, exec, s[52:53]
	s_or_b64 exec, exec, s[50:51]
	s_and_saveexec_b64 s[50:51], s[8:9]
	s_cbranch_execz .LBB30_31
.LBB30_181:                             ;   in Loop: Header=BB30_9 Depth=2
	s_and_saveexec_b64 s[52:53], s[34:35]
	s_cbranch_execz .LBB30_187
; %bb.182:                              ;   in Loop: Header=BB30_9 Depth=2
	s_and_saveexec_b64 s[54:55], s[30:31]
	s_cbranch_execz .LBB30_186
; %bb.183:                              ;   in Loop: Header=BB30_9 Depth=2
	;; [unrolled: 3-line block ×3, first 2 shown]
	v_ashrrev_i32_e32 v3, 31, v2
	v_lshlrev_b64 v[36:37], 2, v[2:3]
	v_mov_b32_e32 v3, s79
	v_add_co_u32_e64 v36, s[40:41], s78, v36
	v_add_u32_e32 v35, s83, v12
	v_addc_co_u32_e64 v37, s[40:41], v3, v37, s[40:41]
	global_load_dword v3, v[36:37], off offset:84
	v_ashrrev_i32_e32 v36, 31, v35
	v_lshlrev_b64 v[35:36], 2, v[35:36]
	v_mov_b32_e32 v37, s75
	v_add_co_u32_e64 v35, s[40:41], s74, v35
	v_addc_co_u32_e64 v36, s[40:41], v37, v36, s[40:41]
	global_load_dword v35, v[35:36], off
	s_waitcnt vmcnt(0)
	v_fmac_f32_e32 v33, v3, v35
.LBB30_185:                             ;   in Loop: Header=BB30_9 Depth=2
	s_or_b64 exec, exec, s[80:81]
.LBB30_186:                             ;   in Loop: Header=BB30_9 Depth=2
	s_or_b64 exec, exec, s[54:55]
.LBB30_187:                             ;   in Loop: Header=BB30_9 Depth=2
	s_or_b64 exec, exec, s[52:53]
	s_or_b64 exec, exec, s[50:51]
	s_and_saveexec_b64 s[50:51], s[8:9]
	s_cbranch_execz .LBB30_32
.LBB30_188:                             ;   in Loop: Header=BB30_9 Depth=2
	s_and_saveexec_b64 s[52:53], s[36:37]
	s_cbranch_execz .LBB30_194
; %bb.189:                              ;   in Loop: Header=BB30_9 Depth=2
	s_and_saveexec_b64 s[54:55], s[30:31]
	s_cbranch_execz .LBB30_193
; %bb.190:                              ;   in Loop: Header=BB30_9 Depth=2
	;; [unrolled: 3-line block ×3, first 2 shown]
	v_ashrrev_i32_e32 v3, 31, v2
	v_lshlrev_b64 v[36:37], 2, v[2:3]
	v_mov_b32_e32 v3, s79
	v_add_co_u32_e64 v36, s[40:41], s78, v36
	v_add_u32_e32 v35, s83, v11
	v_addc_co_u32_e64 v37, s[40:41], v3, v37, s[40:41]
	global_load_dword v3, v[36:37], off offset:88
	v_ashrrev_i32_e32 v36, 31, v35
	v_lshlrev_b64 v[35:36], 2, v[35:36]
	v_mov_b32_e32 v37, s75
	v_add_co_u32_e64 v35, s[40:41], s74, v35
	v_addc_co_u32_e64 v36, s[40:41], v37, v36, s[40:41]
	global_load_dword v35, v[35:36], off
	s_waitcnt vmcnt(0)
	v_fmac_f32_e32 v33, v3, v35
.LBB30_192:                             ;   in Loop: Header=BB30_9 Depth=2
	s_or_b64 exec, exec, s[80:81]
.LBB30_193:                             ;   in Loop: Header=BB30_9 Depth=2
	s_or_b64 exec, exec, s[54:55]
.LBB30_194:                             ;   in Loop: Header=BB30_9 Depth=2
	s_or_b64 exec, exec, s[52:53]
	s_or_b64 exec, exec, s[50:51]
	s_and_saveexec_b64 s[50:51], s[8:9]
	s_cbranch_execz .LBB30_33
.LBB30_195:                             ;   in Loop: Header=BB30_9 Depth=2
	s_and_saveexec_b64 s[52:53], s[38:39]
	s_cbranch_execz .LBB30_201
; %bb.196:                              ;   in Loop: Header=BB30_9 Depth=2
	s_and_saveexec_b64 s[54:55], s[30:31]
	s_cbranch_execz .LBB30_200
; %bb.197:                              ;   in Loop: Header=BB30_9 Depth=2
	;; [unrolled: 3-line block ×3, first 2 shown]
	v_ashrrev_i32_e32 v3, 31, v2
	v_lshlrev_b64 v[36:37], 2, v[2:3]
	v_mov_b32_e32 v3, s79
	v_add_co_u32_e64 v36, s[40:41], s78, v36
	v_add_u32_e32 v35, s83, v10
	v_addc_co_u32_e64 v37, s[40:41], v3, v37, s[40:41]
	global_load_dword v3, v[36:37], off offset:92
	v_ashrrev_i32_e32 v36, 31, v35
	v_lshlrev_b64 v[35:36], 2, v[35:36]
	v_mov_b32_e32 v37, s75
	v_add_co_u32_e64 v35, s[40:41], s74, v35
	v_addc_co_u32_e64 v36, s[40:41], v37, v36, s[40:41]
	global_load_dword v35, v[35:36], off
	s_waitcnt vmcnt(0)
	v_fmac_f32_e32 v33, v3, v35
.LBB30_199:                             ;   in Loop: Header=BB30_9 Depth=2
	s_or_b64 exec, exec, s[80:81]
.LBB30_200:                             ;   in Loop: Header=BB30_9 Depth=2
	s_or_b64 exec, exec, s[54:55]
.LBB30_201:                             ;   in Loop: Header=BB30_9 Depth=2
	s_or_b64 exec, exec, s[52:53]
	s_or_b64 exec, exec, s[50:51]
	s_and_saveexec_b64 s[50:51], s[8:9]
	s_cbranch_execz .LBB30_8
.LBB30_202:                             ;   in Loop: Header=BB30_9 Depth=2
	s_and_saveexec_b64 s[52:53], s[46:47]
	s_cbranch_execz .LBB30_7
; %bb.203:                              ;   in Loop: Header=BB30_9 Depth=2
	s_and_saveexec_b64 s[54:55], s[48:49]
	s_cbranch_execz .LBB30_6
; %bb.204:                              ;   in Loop: Header=BB30_9 Depth=2
	v_ashrrev_i32_e32 v3, 31, v2
	v_lshlrev_b64 v[36:37], 2, v[2:3]
	v_mov_b32_e32 v3, s79
	v_add_co_u32_e64 v36, s[40:41], s78, v36
	v_add_u32_e32 v35, s83, v9
	v_addc_co_u32_e64 v37, s[40:41], v3, v37, s[40:41]
	global_load_dword v3, v[36:37], off offset:96
	v_ashrrev_i32_e32 v36, 31, v35
	v_lshlrev_b64 v[35:36], 2, v[35:36]
	v_mov_b32_e32 v37, s75
	v_add_co_u32_e64 v35, s[40:41], s74, v35
	v_addc_co_u32_e64 v36, s[40:41], v37, v36, s[40:41]
	global_load_dword v35, v[35:36], off
	s_waitcnt vmcnt(0)
	v_fmac_f32_e32 v33, v3, v35
	s_branch .LBB30_6
.LBB30_205:
	s_endpgm
	.section	.rodata,"a",@progbits
	.p2align	6, 0x0
	.amdhsa_kernel _ZN2at6native12_GLOBAL__N_132conv_depthwise2d_backward_kernelILi5ELi0EfiEEvN5torch10headeronly6detail27GenericPackedTensorAccessorINS5_14TensorAccessorIN3c108ArrayRefIlEEKT1_Lm3ENS4_16DefaultPtrTraitsEiEENS_6detail16IndexBoundsCheckILm4EiEESC_Lm4ESD_iEENS6_INS7_ISA_SB_Lm3ESD_iEESH_SB_Lm4ESD_iEESI_T2_iiiiiiiiiiiiiii
		.amdhsa_group_segment_fixed_size 0
		.amdhsa_private_segment_fixed_size 0
		.amdhsa_kernarg_size 440
		.amdhsa_user_sgpr_count 6
		.amdhsa_user_sgpr_private_segment_buffer 1
		.amdhsa_user_sgpr_dispatch_ptr 0
		.amdhsa_user_sgpr_queue_ptr 0
		.amdhsa_user_sgpr_kernarg_segment_ptr 1
		.amdhsa_user_sgpr_dispatch_id 0
		.amdhsa_user_sgpr_flat_scratch_init 0
		.amdhsa_user_sgpr_private_segment_size 0
		.amdhsa_uses_dynamic_stack 0
		.amdhsa_system_sgpr_private_segment_wavefront_offset 0
		.amdhsa_system_sgpr_workgroup_id_x 1
		.amdhsa_system_sgpr_workgroup_id_y 0
		.amdhsa_system_sgpr_workgroup_id_z 0
		.amdhsa_system_sgpr_workgroup_info 0
		.amdhsa_system_vgpr_workitem_id 0
		.amdhsa_next_free_vgpr 45
		.amdhsa_next_free_sgpr 96
		.amdhsa_reserve_vcc 1
		.amdhsa_reserve_flat_scratch 0
		.amdhsa_float_round_mode_32 0
		.amdhsa_float_round_mode_16_64 0
		.amdhsa_float_denorm_mode_32 3
		.amdhsa_float_denorm_mode_16_64 3
		.amdhsa_dx10_clamp 1
		.amdhsa_ieee_mode 1
		.amdhsa_fp16_overflow 0
		.amdhsa_exception_fp_ieee_invalid_op 0
		.amdhsa_exception_fp_denorm_src 0
		.amdhsa_exception_fp_ieee_div_zero 0
		.amdhsa_exception_fp_ieee_overflow 0
		.amdhsa_exception_fp_ieee_underflow 0
		.amdhsa_exception_fp_ieee_inexact 0
		.amdhsa_exception_int_div_zero 0
	.end_amdhsa_kernel
	.section	.text._ZN2at6native12_GLOBAL__N_132conv_depthwise2d_backward_kernelILi5ELi0EfiEEvN5torch10headeronly6detail27GenericPackedTensorAccessorINS5_14TensorAccessorIN3c108ArrayRefIlEEKT1_Lm3ENS4_16DefaultPtrTraitsEiEENS_6detail16IndexBoundsCheckILm4EiEESC_Lm4ESD_iEENS6_INS7_ISA_SB_Lm3ESD_iEESH_SB_Lm4ESD_iEESI_T2_iiiiiiiiiiiiiii,"axG",@progbits,_ZN2at6native12_GLOBAL__N_132conv_depthwise2d_backward_kernelILi5ELi0EfiEEvN5torch10headeronly6detail27GenericPackedTensorAccessorINS5_14TensorAccessorIN3c108ArrayRefIlEEKT1_Lm3ENS4_16DefaultPtrTraitsEiEENS_6detail16IndexBoundsCheckILm4EiEESC_Lm4ESD_iEENS6_INS7_ISA_SB_Lm3ESD_iEESH_SB_Lm4ESD_iEESI_T2_iiiiiiiiiiiiiii,comdat
.Lfunc_end30:
	.size	_ZN2at6native12_GLOBAL__N_132conv_depthwise2d_backward_kernelILi5ELi0EfiEEvN5torch10headeronly6detail27GenericPackedTensorAccessorINS5_14TensorAccessorIN3c108ArrayRefIlEEKT1_Lm3ENS4_16DefaultPtrTraitsEiEENS_6detail16IndexBoundsCheckILm4EiEESC_Lm4ESD_iEENS6_INS7_ISA_SB_Lm3ESD_iEESH_SB_Lm4ESD_iEESI_T2_iiiiiiiiiiiiiii, .Lfunc_end30-_ZN2at6native12_GLOBAL__N_132conv_depthwise2d_backward_kernelILi5ELi0EfiEEvN5torch10headeronly6detail27GenericPackedTensorAccessorINS5_14TensorAccessorIN3c108ArrayRefIlEEKT1_Lm3ENS4_16DefaultPtrTraitsEiEENS_6detail16IndexBoundsCheckILm4EiEESC_Lm4ESD_iEENS6_INS7_ISA_SB_Lm3ESD_iEESH_SB_Lm4ESD_iEESI_T2_iiiiiiiiiiiiiii
                                        ; -- End function
	.set _ZN2at6native12_GLOBAL__N_132conv_depthwise2d_backward_kernelILi5ELi0EfiEEvN5torch10headeronly6detail27GenericPackedTensorAccessorINS5_14TensorAccessorIN3c108ArrayRefIlEEKT1_Lm3ENS4_16DefaultPtrTraitsEiEENS_6detail16IndexBoundsCheckILm4EiEESC_Lm4ESD_iEENS6_INS7_ISA_SB_Lm3ESD_iEESH_SB_Lm4ESD_iEESI_T2_iiiiiiiiiiiiiii.num_vgpr, 45
	.set _ZN2at6native12_GLOBAL__N_132conv_depthwise2d_backward_kernelILi5ELi0EfiEEvN5torch10headeronly6detail27GenericPackedTensorAccessorINS5_14TensorAccessorIN3c108ArrayRefIlEEKT1_Lm3ENS4_16DefaultPtrTraitsEiEENS_6detail16IndexBoundsCheckILm4EiEESC_Lm4ESD_iEENS6_INS7_ISA_SB_Lm3ESD_iEESH_SB_Lm4ESD_iEESI_T2_iiiiiiiiiiiiiii.num_agpr, 0
	.set _ZN2at6native12_GLOBAL__N_132conv_depthwise2d_backward_kernelILi5ELi0EfiEEvN5torch10headeronly6detail27GenericPackedTensorAccessorINS5_14TensorAccessorIN3c108ArrayRefIlEEKT1_Lm3ENS4_16DefaultPtrTraitsEiEENS_6detail16IndexBoundsCheckILm4EiEESC_Lm4ESD_iEENS6_INS7_ISA_SB_Lm3ESD_iEESH_SB_Lm4ESD_iEESI_T2_iiiiiiiiiiiiiii.numbered_sgpr, 96
	.set _ZN2at6native12_GLOBAL__N_132conv_depthwise2d_backward_kernelILi5ELi0EfiEEvN5torch10headeronly6detail27GenericPackedTensorAccessorINS5_14TensorAccessorIN3c108ArrayRefIlEEKT1_Lm3ENS4_16DefaultPtrTraitsEiEENS_6detail16IndexBoundsCheckILm4EiEESC_Lm4ESD_iEENS6_INS7_ISA_SB_Lm3ESD_iEESH_SB_Lm4ESD_iEESI_T2_iiiiiiiiiiiiiii.num_named_barrier, 0
	.set _ZN2at6native12_GLOBAL__N_132conv_depthwise2d_backward_kernelILi5ELi0EfiEEvN5torch10headeronly6detail27GenericPackedTensorAccessorINS5_14TensorAccessorIN3c108ArrayRefIlEEKT1_Lm3ENS4_16DefaultPtrTraitsEiEENS_6detail16IndexBoundsCheckILm4EiEESC_Lm4ESD_iEENS6_INS7_ISA_SB_Lm3ESD_iEESH_SB_Lm4ESD_iEESI_T2_iiiiiiiiiiiiiii.private_seg_size, 0
	.set _ZN2at6native12_GLOBAL__N_132conv_depthwise2d_backward_kernelILi5ELi0EfiEEvN5torch10headeronly6detail27GenericPackedTensorAccessorINS5_14TensorAccessorIN3c108ArrayRefIlEEKT1_Lm3ENS4_16DefaultPtrTraitsEiEENS_6detail16IndexBoundsCheckILm4EiEESC_Lm4ESD_iEENS6_INS7_ISA_SB_Lm3ESD_iEESH_SB_Lm4ESD_iEESI_T2_iiiiiiiiiiiiiii.uses_vcc, 1
	.set _ZN2at6native12_GLOBAL__N_132conv_depthwise2d_backward_kernelILi5ELi0EfiEEvN5torch10headeronly6detail27GenericPackedTensorAccessorINS5_14TensorAccessorIN3c108ArrayRefIlEEKT1_Lm3ENS4_16DefaultPtrTraitsEiEENS_6detail16IndexBoundsCheckILm4EiEESC_Lm4ESD_iEENS6_INS7_ISA_SB_Lm3ESD_iEESH_SB_Lm4ESD_iEESI_T2_iiiiiiiiiiiiiii.uses_flat_scratch, 0
	.set _ZN2at6native12_GLOBAL__N_132conv_depthwise2d_backward_kernelILi5ELi0EfiEEvN5torch10headeronly6detail27GenericPackedTensorAccessorINS5_14TensorAccessorIN3c108ArrayRefIlEEKT1_Lm3ENS4_16DefaultPtrTraitsEiEENS_6detail16IndexBoundsCheckILm4EiEESC_Lm4ESD_iEENS6_INS7_ISA_SB_Lm3ESD_iEESH_SB_Lm4ESD_iEESI_T2_iiiiiiiiiiiiiii.has_dyn_sized_stack, 0
	.set _ZN2at6native12_GLOBAL__N_132conv_depthwise2d_backward_kernelILi5ELi0EfiEEvN5torch10headeronly6detail27GenericPackedTensorAccessorINS5_14TensorAccessorIN3c108ArrayRefIlEEKT1_Lm3ENS4_16DefaultPtrTraitsEiEENS_6detail16IndexBoundsCheckILm4EiEESC_Lm4ESD_iEENS6_INS7_ISA_SB_Lm3ESD_iEESH_SB_Lm4ESD_iEESI_T2_iiiiiiiiiiiiiii.has_recursion, 0
	.set _ZN2at6native12_GLOBAL__N_132conv_depthwise2d_backward_kernelILi5ELi0EfiEEvN5torch10headeronly6detail27GenericPackedTensorAccessorINS5_14TensorAccessorIN3c108ArrayRefIlEEKT1_Lm3ENS4_16DefaultPtrTraitsEiEENS_6detail16IndexBoundsCheckILm4EiEESC_Lm4ESD_iEENS6_INS7_ISA_SB_Lm3ESD_iEESH_SB_Lm4ESD_iEESI_T2_iiiiiiiiiiiiiii.has_indirect_call, 0
	.section	.AMDGPU.csdata,"",@progbits
; Kernel info:
; codeLenInByte = 7328
; TotalNumSgprs: 100
; NumVgprs: 45
; ScratchSize: 0
; MemoryBound: 0
; FloatMode: 240
; IeeeMode: 1
; LDSByteSize: 0 bytes/workgroup (compile time only)
; SGPRBlocks: 12
; VGPRBlocks: 11
; NumSGPRsForWavesPerEU: 100
; NumVGPRsForWavesPerEU: 45
; Occupancy: 5
; WaveLimiterHint : 0
; COMPUTE_PGM_RSRC2:SCRATCH_EN: 0
; COMPUTE_PGM_RSRC2:USER_SGPR: 6
; COMPUTE_PGM_RSRC2:TRAP_HANDLER: 0
; COMPUTE_PGM_RSRC2:TGID_X_EN: 1
; COMPUTE_PGM_RSRC2:TGID_Y_EN: 0
; COMPUTE_PGM_RSRC2:TGID_Z_EN: 0
; COMPUTE_PGM_RSRC2:TIDIG_COMP_CNT: 0
	.section	.text._ZN2at6native12_GLOBAL__N_132conv_depthwise2d_backward_kernelILi3ELi1EfiEEvN5torch10headeronly6detail27GenericPackedTensorAccessorINS5_14TensorAccessorIN3c108ArrayRefIlEEKT1_Lm3ENS4_16DefaultPtrTraitsEiEENS_6detail16IndexBoundsCheckILm4EiEESC_Lm4ESD_iEENS6_INS7_ISA_SB_Lm3ESD_iEESH_SB_Lm4ESD_iEESI_T2_iiiiiiiiiiiiiii,"axG",@progbits,_ZN2at6native12_GLOBAL__N_132conv_depthwise2d_backward_kernelILi3ELi1EfiEEvN5torch10headeronly6detail27GenericPackedTensorAccessorINS5_14TensorAccessorIN3c108ArrayRefIlEEKT1_Lm3ENS4_16DefaultPtrTraitsEiEENS_6detail16IndexBoundsCheckILm4EiEESC_Lm4ESD_iEENS6_INS7_ISA_SB_Lm3ESD_iEESH_SB_Lm4ESD_iEESI_T2_iiiiiiiiiiiiiii,comdat
	.globl	_ZN2at6native12_GLOBAL__N_132conv_depthwise2d_backward_kernelILi3ELi1EfiEEvN5torch10headeronly6detail27GenericPackedTensorAccessorINS5_14TensorAccessorIN3c108ArrayRefIlEEKT1_Lm3ENS4_16DefaultPtrTraitsEiEENS_6detail16IndexBoundsCheckILm4EiEESC_Lm4ESD_iEENS6_INS7_ISA_SB_Lm3ESD_iEESH_SB_Lm4ESD_iEESI_T2_iiiiiiiiiiiiiii ; -- Begin function _ZN2at6native12_GLOBAL__N_132conv_depthwise2d_backward_kernelILi3ELi1EfiEEvN5torch10headeronly6detail27GenericPackedTensorAccessorINS5_14TensorAccessorIN3c108ArrayRefIlEEKT1_Lm3ENS4_16DefaultPtrTraitsEiEENS_6detail16IndexBoundsCheckILm4EiEESC_Lm4ESD_iEENS6_INS7_ISA_SB_Lm3ESD_iEESH_SB_Lm4ESD_iEESI_T2_iiiiiiiiiiiiiii
	.p2align	8
	.type	_ZN2at6native12_GLOBAL__N_132conv_depthwise2d_backward_kernelILi3ELi1EfiEEvN5torch10headeronly6detail27GenericPackedTensorAccessorINS5_14TensorAccessorIN3c108ArrayRefIlEEKT1_Lm3ENS4_16DefaultPtrTraitsEiEENS_6detail16IndexBoundsCheckILm4EiEESC_Lm4ESD_iEENS6_INS7_ISA_SB_Lm3ESD_iEESH_SB_Lm4ESD_iEESI_T2_iiiiiiiiiiiiiii,@function
_ZN2at6native12_GLOBAL__N_132conv_depthwise2d_backward_kernelILi3ELi1EfiEEvN5torch10headeronly6detail27GenericPackedTensorAccessorINS5_14TensorAccessorIN3c108ArrayRefIlEEKT1_Lm3ENS4_16DefaultPtrTraitsEiEENS_6detail16IndexBoundsCheckILm4EiEESC_Lm4ESD_iEENS6_INS7_ISA_SB_Lm3ESD_iEESH_SB_Lm4ESD_iEESI_T2_iiiiiiiiiiiiiii: ; @_ZN2at6native12_GLOBAL__N_132conv_depthwise2d_backward_kernelILi3ELi1EfiEEvN5torch10headeronly6detail27GenericPackedTensorAccessorINS5_14TensorAccessorIN3c108ArrayRefIlEEKT1_Lm3ENS4_16DefaultPtrTraitsEiEENS_6detail16IndexBoundsCheckILm4EiEESC_Lm4ESD_iEENS6_INS7_ISA_SB_Lm3ESD_iEESH_SB_Lm4ESD_iEESI_T2_iiiiiiiiiiiiiii
; %bb.0:
	s_load_dword s2, s[4:5], 0xc4
	s_load_dwordx8 s[8:15], s[4:5], 0x78
	s_add_u32 s0, s4, 0xb8
	s_addc_u32 s1, s5, 0
	v_mov_b32_e32 v1, 0
	s_waitcnt lgkmcnt(0)
	s_and_b32 s2, s2, 0xffff
	v_mov_b32_e32 v2, s6
	v_mad_u64_u32 v[1:2], s[16:17], s2, v2, v[0:1]
	s_ashr_i32 s21, s8, 31
	s_mov_b32 s20, s8
	v_cmp_gt_i64_e32 vcc, s[20:21], v[1:2]
	s_and_saveexec_b64 s[16:17], vcc
	s_cbranch_execz .LBB31_25
; %bb.1:
	s_cmp_gt_i32 s10, 0
	s_cselect_b64 s[30:31], -1, 0
	s_abs_i32 s8, s12
	v_cvt_f32_u32_e32 v3, s8
	s_abs_i32 s33, s13
	v_cvt_f32_u32_e32 v4, s33
	s_abs_i32 s46, s9
	v_rcp_iflag_f32_e32 v3, v3
	v_cvt_f32_u32_e32 v5, s46
	v_rcp_iflag_f32_e32 v4, v4
	s_load_dwordx2 s[28:29], s[4:5], 0x98
	s_load_dwordx2 s[22:23], s[4:5], 0x0
	s_load_dwordx2 s[24:25], s[4:5], 0x28
	s_load_dwordx2 s[26:27], s[4:5], 0x50
	s_load_dword s3, s[0:1], 0x0
	v_mul_f32_e32 v3, 0x4f7ffffe, v3
	v_rcp_iflag_f32_e32 v5, v5
	v_cvt_u32_f32_e32 v3, v3
	v_mul_f32_e32 v4, 0x4f7ffffe, v4
	s_sub_i32 s0, 0, s8
	v_cvt_u32_f32_e32 v4, v4
	v_mul_f32_e32 v5, 0x4f7ffffe, v5
	v_mul_lo_u32 v6, s0, v3
	v_cvt_u32_f32_e32 v7, v5
	s_sub_i32 s0, 0, s33
	v_mul_lo_u32 v5, s0, v4
	s_sub_i32 s0, 0, s46
	v_mul_hi_u32 v6, v3, v6
	v_mul_lo_u32 v8, s0, v7
	s_load_dwordx4 s[16:19], s[4:5], 0xa8
	v_mul_hi_u32 v9, v4, v5
	v_add_u32_e32 v5, v3, v6
	v_mul_hi_u32 v3, v7, v8
	s_mul_i32 s0, s6, s2
	s_waitcnt lgkmcnt(0)
	s_add_i32 s0, s0, s16
	v_add_u32_e32 v0, s0, v0
	s_lshl_b32 s0, s18, 1
	v_add_u32_e32 v7, v7, v3
	s_mul_i32 s51, s29, s28
	v_subrev_u32_e32 v8, s0, v0
	s_lshl_b32 s0, s19, 1
	v_cndmask_b32_e64 v3, 0, 1, s[30:31]
	s_mul_i32 s47, s3, s2
	s_ashr_i32 s48, s12, 31
	s_ashr_i32 s49, s13, 31
	v_add_u32_e32 v6, v4, v9
	s_ashr_i32 s50, s9, 31
	s_mul_i32 s52, s51, s10
	s_sub_i32 s53, 0, s12
	s_sub_i32 s54, s17, s0
	s_mul_i32 s55, s15, s14
	v_subrev_u32_e32 v9, s18, v0
	s_sub_i32 s56, s17, s19
	s_mov_b64 s[28:29], 0
	v_cmp_ne_u32_e64 s[0:1], 1, v3
	s_branch .LBB31_4
.LBB31_2:                               ;   in Loop: Header=BB31_4 Depth=1
	v_mov_b32_e32 v16, 0
.LBB31_3:                               ;   in Loop: Header=BB31_4 Depth=1
	v_lshlrev_b64 v[3:4], 2, v[1:2]
	v_mov_b32_e32 v10, s25
	v_add_co_u32_e32 v3, vcc, s24, v3
	v_addc_co_u32_e32 v4, vcc, v10, v4, vcc
	v_add_co_u32_e32 v1, vcc, s47, v1
	v_addc_co_u32_e32 v2, vcc, 0, v2, vcc
	v_cmp_le_i64_e32 vcc, s[20:21], v[1:2]
	v_add_u32_e32 v8, s47, v8
	v_add_u32_e32 v9, s47, v9
	s_or_b64 s[28:29], vcc, s[28:29]
	v_add_u32_e32 v0, s47, v0
	global_store_dword v[3:4], v16, off
	s_andn2_b64 exec, exec, s[28:29]
	s_cbranch_execz .LBB31_25
.LBB31_4:                               ; =>This Loop Header: Depth=1
                                        ;     Child Loop BB31_7 Depth 2
	s_and_b64 vcc, exec, s[0:1]
	s_cbranch_vccnz .LBB31_2
; %bb.5:                                ;   in Loop: Header=BB31_4 Depth=1
	v_sub_u32_e32 v3, 0, v1
	v_max_i32_e32 v3, v1, v3
	v_mul_hi_u32 v10, v3, v5
	v_ashrrev_i32_e32 v4, 31, v1
	v_xor_b32_e32 v4, s48, v4
	v_add_u32_e32 v17, s16, v1
	v_mul_lo_u32 v11, v10, s8
	v_add_u32_e32 v12, 1, v10
	s_mov_b32 s57, s10
	v_sub_u32_e32 v3, v3, v11
	v_cmp_le_u32_e32 vcc, s8, v3
	v_subrev_u32_e32 v11, s8, v3
	v_cndmask_b32_e32 v10, v10, v12, vcc
	v_cndmask_b32_e32 v3, v3, v11, vcc
	v_add_u32_e32 v11, 1, v10
	v_cmp_le_u32_e32 vcc, s8, v3
	v_cndmask_b32_e32 v3, v10, v11, vcc
	v_xor_b32_e32 v14, v3, v4
	v_sub_u32_e32 v12, v14, v4
	v_sub_u32_e32 v3, 0, v12
	v_max_i32_e32 v3, v12, v3
	v_mul_hi_u32 v10, v3, v6
	v_ashrrev_i32_e32 v13, 31, v12
	v_xor_b32_e32 v13, s49, v13
	v_mul_lo_u32 v11, v10, s33
	v_add_u32_e32 v15, 1, v10
	v_sub_u32_e32 v3, v3, v11
	v_cmp_le_u32_e32 vcc, s33, v3
	v_subrev_u32_e32 v11, s33, v3
	v_cndmask_b32_e32 v10, v10, v15, vcc
	v_cndmask_b32_e32 v3, v3, v11, vcc
	v_add_u32_e32 v11, 1, v10
	v_cmp_le_u32_e32 vcc, s33, v3
	v_cndmask_b32_e32 v3, v10, v11, vcc
	v_xor_b32_e32 v3, v3, v13
	v_sub_u32_e32 v3, v3, v13
	v_sub_u32_e32 v10, 0, v3
	v_max_i32_e32 v10, v3, v10
	v_mul_hi_u32 v11, v10, v7
	v_ashrrev_i32_e32 v15, 31, v3
	v_xor_b32_e32 v15, s50, v15
	v_mul_lo_u32 v13, v11, s46
	v_add_u32_e32 v16, 1, v11
	v_sub_u32_e32 v10, v10, v13
	v_cmp_le_u32_e32 vcc, s46, v10
	v_subrev_u32_e32 v13, s46, v10
	v_cndmask_b32_e32 v11, v11, v16, vcc
	v_cndmask_b32_e32 v10, v10, v13, vcc
	v_add_u32_e32 v13, 1, v11
	v_cmp_le_u32_e32 vcc, s46, v10
	v_cndmask_b32_e32 v10, v11, v13, vcc
	v_xor_b32_e32 v10, v10, v15
	v_sub_u32_e32 v10, v10, v15
	v_mul_lo_u32 v11, v10, s9
	v_mul_lo_u32 v15, v3, s13
	;; [unrolled: 1-line block ×3, first 2 shown]
	v_sub_u32_e32 v13, v3, v11
	v_add_u32_e32 v11, s17, v12
	v_mul_lo_u32 v3, v10, s11
	v_sub_u32_e32 v10, v11, v15
	v_cmp_gt_i32_e32 vcc, 0, v10
	v_cmp_gt_i32_e64 s[2:3], s15, v10
	v_sub_u32_e32 v10, v17, v16
	v_cmp_lt_i32_e64 s[4:5], -1, v10
	v_cmp_gt_i32_e64 s[6:7], s14, v10
	v_add_u32_e32 v10, s18, v16
	v_sub_u32_e32 v16, v17, v10
	v_add_u32_e32 v10, s18, v10
	s_and_b64 s[30:31], s[4:5], s[6:7]
	v_cmp_lt_i32_e64 s[4:5], -1, v16
	v_cmp_gt_i32_e64 s[6:7], s14, v16
	v_sub_u32_e32 v10, v17, v10
	s_and_b64 s[36:37], s[4:5], s[6:7]
	v_cmp_lt_i32_e64 s[4:5], -1, v10
	v_cmp_gt_i32_e64 s[6:7], s14, v10
	v_add_u32_e32 v10, s19, v15
	v_sub_u32_e32 v16, v11, v10
	v_add_u32_e32 v10, s19, v10
	s_and_b64 s[40:41], s[4:5], s[6:7]
	v_sub_u32_e32 v10, v11, v10
	s_and_b64 s[34:35], s[2:3], s[30:31]
	s_and_b64 s[42:43], s[2:3], s[40:41]
	v_cmp_gt_i32_e64 s[4:5], s15, v16
	v_cmp_gt_i32_e64 s[6:7], s15, v10
	s_and_b64 s[44:45], s[4:5], s[30:31]
	s_and_b64 s[58:59], s[4:5], s[36:37]
	;; [unrolled: 1-line block ×3, first 2 shown]
	v_cmp_gt_i32_e64 s[4:5], 0, v10
	s_and_b64 s[62:63], s[6:7], s[30:31]
	s_and_b64 s[64:65], s[6:7], s[36:37]
	;; [unrolled: 1-line block ×3, first 2 shown]
	s_xor_b64 s[6:7], s[34:35], -1
	s_xor_b64 s[34:35], s[42:43], -1
	v_mad_u64_u32 v[10:11], s[42:43], v13, s10, v[3:4]
	s_and_b64 s[38:39], s[2:3], s[36:37]
	v_cmp_gt_i32_e64 s[2:3], 0, v16
	v_mul_lo_u32 v16, s15, v10
	v_mul_lo_u32 v10, s53, v12
	s_xor_b64 s[30:31], s[38:39], -1
	s_xor_b64 s[36:37], s[44:45], -1
	v_add3_u32 v3, s54, v14, v16
	v_sub_u32_e32 v3, v3, v15
	v_sub_u32_e32 v3, v3, v4
	v_mul_lo_u32 v17, s14, v3
	v_mul_lo_u32 v3, s52, v13
	s_xor_b64 s[38:39], s[58:59], -1
	s_xor_b64 s[40:41], s[60:61], -1
	v_add_u32_e32 v11, v8, v17
	v_add_u32_e32 v12, v9, v17
	;; [unrolled: 1-line block ×3, first 2 shown]
	v_add3_u32 v17, s56, v14, v16
	v_add3_u32 v14, s17, v14, v16
	v_sub_u32_e32 v17, v17, v15
	v_sub_u32_e32 v14, v14, v15
	;; [unrolled: 1-line block ×4, first 2 shown]
	v_mul_lo_u32 v17, s14, v17
	v_mul_lo_u32 v4, s14, v4
	s_nor_b64 s[36:37], s[2:3], s[36:37]
	s_nor_b64 s[38:39], s[2:3], s[38:39]
	;; [unrolled: 1-line block ×3, first 2 shown]
	s_xor_b64 s[40:41], s[62:63], -1
	s_xor_b64 s[42:43], s[64:65], -1
	;; [unrolled: 1-line block ×3, first 2 shown]
	s_nor_b64 s[6:7], vcc, s[6:7]
	s_nor_b64 s[30:31], vcc, s[30:31]
	;; [unrolled: 1-line block ×3, first 2 shown]
	s_nor_b64 s[40:41], s[4:5], s[40:41]
	s_nor_b64 s[42:43], s[4:5], s[42:43]
	;; [unrolled: 1-line block ×3, first 2 shown]
	v_add_u32_e32 v14, v8, v17
	v_add_u32_e32 v15, v9, v17
	;; [unrolled: 1-line block ×6, first 2 shown]
	v_mov_b32_e32 v16, 0
	s_branch .LBB31_7
.LBB31_6:                               ;   in Loop: Header=BB31_7 Depth=2
	s_or_b64 exec, exec, s[44:45]
	s_add_i32 s57, s57, -1
	v_add_u32_e32 v3, s51, v3
	v_add_u32_e32 v11, s55, v11
	;; [unrolled: 1-line block ×9, first 2 shown]
	s_cmp_eq_u32 s57, 0
	v_add_u32_e32 v20, s55, v20
	s_cbranch_scc1 .LBB31_3
.LBB31_7:                               ;   Parent Loop BB31_4 Depth=1
                                        ; =>  This Inner Loop Header: Depth=2
	v_ashrrev_i32_e32 v4, 31, v3
	s_and_saveexec_b64 s[44:45], s[6:7]
	s_cbranch_execnz .LBB31_16
; %bb.8:                                ;   in Loop: Header=BB31_7 Depth=2
	s_or_b64 exec, exec, s[44:45]
	s_and_saveexec_b64 s[44:45], s[30:31]
	s_cbranch_execnz .LBB31_17
.LBB31_9:                               ;   in Loop: Header=BB31_7 Depth=2
	s_or_b64 exec, exec, s[44:45]
	s_and_saveexec_b64 s[44:45], s[34:35]
	s_cbranch_execnz .LBB31_18
.LBB31_10:                              ;   in Loop: Header=BB31_7 Depth=2
	s_or_b64 exec, exec, s[44:45]
	s_and_saveexec_b64 s[44:45], s[36:37]
	s_cbranch_execnz .LBB31_19
.LBB31_11:                              ;   in Loop: Header=BB31_7 Depth=2
	s_or_b64 exec, exec, s[44:45]
	s_and_saveexec_b64 s[44:45], s[38:39]
	s_cbranch_execnz .LBB31_20
.LBB31_12:                              ;   in Loop: Header=BB31_7 Depth=2
	s_or_b64 exec, exec, s[44:45]
	s_and_saveexec_b64 s[44:45], s[2:3]
	s_cbranch_execnz .LBB31_21
.LBB31_13:                              ;   in Loop: Header=BB31_7 Depth=2
	s_or_b64 exec, exec, s[44:45]
	s_and_saveexec_b64 s[44:45], s[40:41]
	s_cbranch_execnz .LBB31_22
.LBB31_14:                              ;   in Loop: Header=BB31_7 Depth=2
	s_or_b64 exec, exec, s[44:45]
	s_and_saveexec_b64 s[44:45], s[42:43]
	s_cbranch_execnz .LBB31_23
.LBB31_15:                              ;   in Loop: Header=BB31_7 Depth=2
	s_or_b64 exec, exec, s[44:45]
	s_and_saveexec_b64 s[44:45], s[4:5]
	s_cbranch_execz .LBB31_6
	s_branch .LBB31_24
.LBB31_16:                              ;   in Loop: Header=BB31_7 Depth=2
	v_lshlrev_b64 v[22:23], 2, v[3:4]
	v_mov_b32_e32 v24, s27
	v_add_co_u32_e32 v22, vcc, s26, v22
	v_add_u32_e32 v21, v10, v20
	v_addc_co_u32_e32 v23, vcc, v24, v23, vcc
	global_load_dword v23, v[22:23], off
	v_ashrrev_i32_e32 v22, 31, v21
	v_lshlrev_b64 v[21:22], 2, v[21:22]
	v_mov_b32_e32 v24, s23
	v_add_co_u32_e32 v21, vcc, s22, v21
	v_addc_co_u32_e32 v22, vcc, v24, v22, vcc
	global_load_dword v21, v[21:22], off
	s_waitcnt vmcnt(0)
	v_fmac_f32_e32 v16, v23, v21
	s_or_b64 exec, exec, s[44:45]
	s_and_saveexec_b64 s[44:45], s[30:31]
	s_cbranch_execz .LBB31_9
.LBB31_17:                              ;   in Loop: Header=BB31_7 Depth=2
	v_lshlrev_b64 v[22:23], 2, v[3:4]
	v_mov_b32_e32 v24, s27
	v_add_co_u32_e32 v22, vcc, s26, v22
	v_add_u32_e32 v21, v10, v19
	v_addc_co_u32_e32 v23, vcc, v24, v23, vcc
	global_load_dword v23, v[22:23], off offset:4
	v_ashrrev_i32_e32 v22, 31, v21
	v_lshlrev_b64 v[21:22], 2, v[21:22]
	v_mov_b32_e32 v24, s23
	v_add_co_u32_e32 v21, vcc, s22, v21
	v_addc_co_u32_e32 v22, vcc, v24, v22, vcc
	global_load_dword v21, v[21:22], off
	s_waitcnt vmcnt(0)
	v_fmac_f32_e32 v16, v23, v21
	s_or_b64 exec, exec, s[44:45]
	s_and_saveexec_b64 s[44:45], s[34:35]
	s_cbranch_execz .LBB31_10
.LBB31_18:                              ;   in Loop: Header=BB31_7 Depth=2
	v_lshlrev_b64 v[22:23], 2, v[3:4]
	v_mov_b32_e32 v24, s27
	v_add_co_u32_e32 v22, vcc, s26, v22
	v_add_u32_e32 v21, v10, v18
	v_addc_co_u32_e32 v23, vcc, v24, v23, vcc
	global_load_dword v23, v[22:23], off offset:8
	v_ashrrev_i32_e32 v22, 31, v21
	v_lshlrev_b64 v[21:22], 2, v[21:22]
	v_mov_b32_e32 v24, s23
	v_add_co_u32_e32 v21, vcc, s22, v21
	v_addc_co_u32_e32 v22, vcc, v24, v22, vcc
	global_load_dword v21, v[21:22], off
	s_waitcnt vmcnt(0)
	v_fmac_f32_e32 v16, v23, v21
	s_or_b64 exec, exec, s[44:45]
	s_and_saveexec_b64 s[44:45], s[36:37]
	s_cbranch_execz .LBB31_11
.LBB31_19:                              ;   in Loop: Header=BB31_7 Depth=2
	v_lshlrev_b64 v[22:23], 2, v[3:4]
	v_mov_b32_e32 v24, s27
	v_add_co_u32_e32 v22, vcc, s26, v22
	v_add_u32_e32 v21, v10, v17
	v_addc_co_u32_e32 v23, vcc, v24, v23, vcc
	global_load_dword v23, v[22:23], off offset:12
	v_ashrrev_i32_e32 v22, 31, v21
	v_lshlrev_b64 v[21:22], 2, v[21:22]
	v_mov_b32_e32 v24, s23
	v_add_co_u32_e32 v21, vcc, s22, v21
	v_addc_co_u32_e32 v22, vcc, v24, v22, vcc
	global_load_dword v21, v[21:22], off
	s_waitcnt vmcnt(0)
	v_fmac_f32_e32 v16, v23, v21
	s_or_b64 exec, exec, s[44:45]
	s_and_saveexec_b64 s[44:45], s[38:39]
	s_cbranch_execz .LBB31_12
.LBB31_20:                              ;   in Loop: Header=BB31_7 Depth=2
	v_lshlrev_b64 v[22:23], 2, v[3:4]
	v_mov_b32_e32 v24, s27
	v_add_co_u32_e32 v22, vcc, s26, v22
	v_add_u32_e32 v21, v10, v15
	v_addc_co_u32_e32 v23, vcc, v24, v23, vcc
	global_load_dword v23, v[22:23], off offset:16
	v_ashrrev_i32_e32 v22, 31, v21
	v_lshlrev_b64 v[21:22], 2, v[21:22]
	v_mov_b32_e32 v24, s23
	v_add_co_u32_e32 v21, vcc, s22, v21
	v_addc_co_u32_e32 v22, vcc, v24, v22, vcc
	global_load_dword v21, v[21:22], off
	s_waitcnt vmcnt(0)
	v_fmac_f32_e32 v16, v23, v21
	s_or_b64 exec, exec, s[44:45]
	s_and_saveexec_b64 s[44:45], s[2:3]
	s_cbranch_execz .LBB31_13
.LBB31_21:                              ;   in Loop: Header=BB31_7 Depth=2
	v_lshlrev_b64 v[22:23], 2, v[3:4]
	v_mov_b32_e32 v24, s27
	v_add_co_u32_e32 v22, vcc, s26, v22
	v_add_u32_e32 v21, v10, v14
	v_addc_co_u32_e32 v23, vcc, v24, v23, vcc
	global_load_dword v23, v[22:23], off offset:20
	v_ashrrev_i32_e32 v22, 31, v21
	v_lshlrev_b64 v[21:22], 2, v[21:22]
	v_mov_b32_e32 v24, s23
	v_add_co_u32_e32 v21, vcc, s22, v21
	v_addc_co_u32_e32 v22, vcc, v24, v22, vcc
	global_load_dword v21, v[21:22], off
	s_waitcnt vmcnt(0)
	v_fmac_f32_e32 v16, v23, v21
	s_or_b64 exec, exec, s[44:45]
	s_and_saveexec_b64 s[44:45], s[40:41]
	s_cbranch_execz .LBB31_14
.LBB31_22:                              ;   in Loop: Header=BB31_7 Depth=2
	v_lshlrev_b64 v[22:23], 2, v[3:4]
	v_mov_b32_e32 v24, s27
	v_add_co_u32_e32 v22, vcc, s26, v22
	v_add_u32_e32 v21, v10, v13
	v_addc_co_u32_e32 v23, vcc, v24, v23, vcc
	global_load_dword v23, v[22:23], off offset:24
	v_ashrrev_i32_e32 v22, 31, v21
	v_lshlrev_b64 v[21:22], 2, v[21:22]
	v_mov_b32_e32 v24, s23
	v_add_co_u32_e32 v21, vcc, s22, v21
	v_addc_co_u32_e32 v22, vcc, v24, v22, vcc
	global_load_dword v21, v[21:22], off
	s_waitcnt vmcnt(0)
	v_fmac_f32_e32 v16, v23, v21
	s_or_b64 exec, exec, s[44:45]
	s_and_saveexec_b64 s[44:45], s[42:43]
	s_cbranch_execz .LBB31_15
.LBB31_23:                              ;   in Loop: Header=BB31_7 Depth=2
	v_lshlrev_b64 v[22:23], 2, v[3:4]
	v_mov_b32_e32 v24, s27
	v_add_co_u32_e32 v22, vcc, s26, v22
	v_add_u32_e32 v21, v10, v12
	v_addc_co_u32_e32 v23, vcc, v24, v23, vcc
	global_load_dword v23, v[22:23], off offset:28
	v_ashrrev_i32_e32 v22, 31, v21
	v_lshlrev_b64 v[21:22], 2, v[21:22]
	v_mov_b32_e32 v24, s23
	v_add_co_u32_e32 v21, vcc, s22, v21
	v_addc_co_u32_e32 v22, vcc, v24, v22, vcc
	global_load_dword v21, v[21:22], off
	s_waitcnt vmcnt(0)
	v_fmac_f32_e32 v16, v23, v21
	s_or_b64 exec, exec, s[44:45]
	s_and_saveexec_b64 s[44:45], s[4:5]
	s_cbranch_execz .LBB31_6
.LBB31_24:                              ;   in Loop: Header=BB31_7 Depth=2
	v_lshlrev_b64 v[22:23], 2, v[3:4]
	v_mov_b32_e32 v4, s27
	v_add_co_u32_e32 v22, vcc, s26, v22
	v_add_u32_e32 v21, v10, v11
	v_addc_co_u32_e32 v23, vcc, v4, v23, vcc
	global_load_dword v4, v[22:23], off offset:32
	v_ashrrev_i32_e32 v22, 31, v21
	v_lshlrev_b64 v[21:22], 2, v[21:22]
	v_mov_b32_e32 v23, s23
	v_add_co_u32_e32 v21, vcc, s22, v21
	v_addc_co_u32_e32 v22, vcc, v23, v22, vcc
	global_load_dword v21, v[21:22], off
	s_waitcnt vmcnt(0)
	v_fmac_f32_e32 v16, v4, v21
	s_branch .LBB31_6
.LBB31_25:
	s_endpgm
	.section	.rodata,"a",@progbits
	.p2align	6, 0x0
	.amdhsa_kernel _ZN2at6native12_GLOBAL__N_132conv_depthwise2d_backward_kernelILi3ELi1EfiEEvN5torch10headeronly6detail27GenericPackedTensorAccessorINS5_14TensorAccessorIN3c108ArrayRefIlEEKT1_Lm3ENS4_16DefaultPtrTraitsEiEENS_6detail16IndexBoundsCheckILm4EiEESC_Lm4ESD_iEENS6_INS7_ISA_SB_Lm3ESD_iEESH_SB_Lm4ESD_iEESI_T2_iiiiiiiiiiiiiii
		.amdhsa_group_segment_fixed_size 0
		.amdhsa_private_segment_fixed_size 0
		.amdhsa_kernarg_size 440
		.amdhsa_user_sgpr_count 6
		.amdhsa_user_sgpr_private_segment_buffer 1
		.amdhsa_user_sgpr_dispatch_ptr 0
		.amdhsa_user_sgpr_queue_ptr 0
		.amdhsa_user_sgpr_kernarg_segment_ptr 1
		.amdhsa_user_sgpr_dispatch_id 0
		.amdhsa_user_sgpr_flat_scratch_init 0
		.amdhsa_user_sgpr_private_segment_size 0
		.amdhsa_uses_dynamic_stack 0
		.amdhsa_system_sgpr_private_segment_wavefront_offset 0
		.amdhsa_system_sgpr_workgroup_id_x 1
		.amdhsa_system_sgpr_workgroup_id_y 0
		.amdhsa_system_sgpr_workgroup_id_z 0
		.amdhsa_system_sgpr_workgroup_info 0
		.amdhsa_system_vgpr_workitem_id 0
		.amdhsa_next_free_vgpr 25
		.amdhsa_next_free_sgpr 68
		.amdhsa_reserve_vcc 1
		.amdhsa_reserve_flat_scratch 0
		.amdhsa_float_round_mode_32 0
		.amdhsa_float_round_mode_16_64 0
		.amdhsa_float_denorm_mode_32 3
		.amdhsa_float_denorm_mode_16_64 3
		.amdhsa_dx10_clamp 1
		.amdhsa_ieee_mode 1
		.amdhsa_fp16_overflow 0
		.amdhsa_exception_fp_ieee_invalid_op 0
		.amdhsa_exception_fp_denorm_src 0
		.amdhsa_exception_fp_ieee_div_zero 0
		.amdhsa_exception_fp_ieee_overflow 0
		.amdhsa_exception_fp_ieee_underflow 0
		.amdhsa_exception_fp_ieee_inexact 0
		.amdhsa_exception_int_div_zero 0
	.end_amdhsa_kernel
	.section	.text._ZN2at6native12_GLOBAL__N_132conv_depthwise2d_backward_kernelILi3ELi1EfiEEvN5torch10headeronly6detail27GenericPackedTensorAccessorINS5_14TensorAccessorIN3c108ArrayRefIlEEKT1_Lm3ENS4_16DefaultPtrTraitsEiEENS_6detail16IndexBoundsCheckILm4EiEESC_Lm4ESD_iEENS6_INS7_ISA_SB_Lm3ESD_iEESH_SB_Lm4ESD_iEESI_T2_iiiiiiiiiiiiiii,"axG",@progbits,_ZN2at6native12_GLOBAL__N_132conv_depthwise2d_backward_kernelILi3ELi1EfiEEvN5torch10headeronly6detail27GenericPackedTensorAccessorINS5_14TensorAccessorIN3c108ArrayRefIlEEKT1_Lm3ENS4_16DefaultPtrTraitsEiEENS_6detail16IndexBoundsCheckILm4EiEESC_Lm4ESD_iEENS6_INS7_ISA_SB_Lm3ESD_iEESH_SB_Lm4ESD_iEESI_T2_iiiiiiiiiiiiiii,comdat
.Lfunc_end31:
	.size	_ZN2at6native12_GLOBAL__N_132conv_depthwise2d_backward_kernelILi3ELi1EfiEEvN5torch10headeronly6detail27GenericPackedTensorAccessorINS5_14TensorAccessorIN3c108ArrayRefIlEEKT1_Lm3ENS4_16DefaultPtrTraitsEiEENS_6detail16IndexBoundsCheckILm4EiEESC_Lm4ESD_iEENS6_INS7_ISA_SB_Lm3ESD_iEESH_SB_Lm4ESD_iEESI_T2_iiiiiiiiiiiiiii, .Lfunc_end31-_ZN2at6native12_GLOBAL__N_132conv_depthwise2d_backward_kernelILi3ELi1EfiEEvN5torch10headeronly6detail27GenericPackedTensorAccessorINS5_14TensorAccessorIN3c108ArrayRefIlEEKT1_Lm3ENS4_16DefaultPtrTraitsEiEENS_6detail16IndexBoundsCheckILm4EiEESC_Lm4ESD_iEENS6_INS7_ISA_SB_Lm3ESD_iEESH_SB_Lm4ESD_iEESI_T2_iiiiiiiiiiiiiii
                                        ; -- End function
	.set _ZN2at6native12_GLOBAL__N_132conv_depthwise2d_backward_kernelILi3ELi1EfiEEvN5torch10headeronly6detail27GenericPackedTensorAccessorINS5_14TensorAccessorIN3c108ArrayRefIlEEKT1_Lm3ENS4_16DefaultPtrTraitsEiEENS_6detail16IndexBoundsCheckILm4EiEESC_Lm4ESD_iEENS6_INS7_ISA_SB_Lm3ESD_iEESH_SB_Lm4ESD_iEESI_T2_iiiiiiiiiiiiiii.num_vgpr, 25
	.set _ZN2at6native12_GLOBAL__N_132conv_depthwise2d_backward_kernelILi3ELi1EfiEEvN5torch10headeronly6detail27GenericPackedTensorAccessorINS5_14TensorAccessorIN3c108ArrayRefIlEEKT1_Lm3ENS4_16DefaultPtrTraitsEiEENS_6detail16IndexBoundsCheckILm4EiEESC_Lm4ESD_iEENS6_INS7_ISA_SB_Lm3ESD_iEESH_SB_Lm4ESD_iEESI_T2_iiiiiiiiiiiiiii.num_agpr, 0
	.set _ZN2at6native12_GLOBAL__N_132conv_depthwise2d_backward_kernelILi3ELi1EfiEEvN5torch10headeronly6detail27GenericPackedTensorAccessorINS5_14TensorAccessorIN3c108ArrayRefIlEEKT1_Lm3ENS4_16DefaultPtrTraitsEiEENS_6detail16IndexBoundsCheckILm4EiEESC_Lm4ESD_iEENS6_INS7_ISA_SB_Lm3ESD_iEESH_SB_Lm4ESD_iEESI_T2_iiiiiiiiiiiiiii.numbered_sgpr, 68
	.set _ZN2at6native12_GLOBAL__N_132conv_depthwise2d_backward_kernelILi3ELi1EfiEEvN5torch10headeronly6detail27GenericPackedTensorAccessorINS5_14TensorAccessorIN3c108ArrayRefIlEEKT1_Lm3ENS4_16DefaultPtrTraitsEiEENS_6detail16IndexBoundsCheckILm4EiEESC_Lm4ESD_iEENS6_INS7_ISA_SB_Lm3ESD_iEESH_SB_Lm4ESD_iEESI_T2_iiiiiiiiiiiiiii.num_named_barrier, 0
	.set _ZN2at6native12_GLOBAL__N_132conv_depthwise2d_backward_kernelILi3ELi1EfiEEvN5torch10headeronly6detail27GenericPackedTensorAccessorINS5_14TensorAccessorIN3c108ArrayRefIlEEKT1_Lm3ENS4_16DefaultPtrTraitsEiEENS_6detail16IndexBoundsCheckILm4EiEESC_Lm4ESD_iEENS6_INS7_ISA_SB_Lm3ESD_iEESH_SB_Lm4ESD_iEESI_T2_iiiiiiiiiiiiiii.private_seg_size, 0
	.set _ZN2at6native12_GLOBAL__N_132conv_depthwise2d_backward_kernelILi3ELi1EfiEEvN5torch10headeronly6detail27GenericPackedTensorAccessorINS5_14TensorAccessorIN3c108ArrayRefIlEEKT1_Lm3ENS4_16DefaultPtrTraitsEiEENS_6detail16IndexBoundsCheckILm4EiEESC_Lm4ESD_iEENS6_INS7_ISA_SB_Lm3ESD_iEESH_SB_Lm4ESD_iEESI_T2_iiiiiiiiiiiiiii.uses_vcc, 1
	.set _ZN2at6native12_GLOBAL__N_132conv_depthwise2d_backward_kernelILi3ELi1EfiEEvN5torch10headeronly6detail27GenericPackedTensorAccessorINS5_14TensorAccessorIN3c108ArrayRefIlEEKT1_Lm3ENS4_16DefaultPtrTraitsEiEENS_6detail16IndexBoundsCheckILm4EiEESC_Lm4ESD_iEENS6_INS7_ISA_SB_Lm3ESD_iEESH_SB_Lm4ESD_iEESI_T2_iiiiiiiiiiiiiii.uses_flat_scratch, 0
	.set _ZN2at6native12_GLOBAL__N_132conv_depthwise2d_backward_kernelILi3ELi1EfiEEvN5torch10headeronly6detail27GenericPackedTensorAccessorINS5_14TensorAccessorIN3c108ArrayRefIlEEKT1_Lm3ENS4_16DefaultPtrTraitsEiEENS_6detail16IndexBoundsCheckILm4EiEESC_Lm4ESD_iEENS6_INS7_ISA_SB_Lm3ESD_iEESH_SB_Lm4ESD_iEESI_T2_iiiiiiiiiiiiiii.has_dyn_sized_stack, 0
	.set _ZN2at6native12_GLOBAL__N_132conv_depthwise2d_backward_kernelILi3ELi1EfiEEvN5torch10headeronly6detail27GenericPackedTensorAccessorINS5_14TensorAccessorIN3c108ArrayRefIlEEKT1_Lm3ENS4_16DefaultPtrTraitsEiEENS_6detail16IndexBoundsCheckILm4EiEESC_Lm4ESD_iEENS6_INS7_ISA_SB_Lm3ESD_iEESH_SB_Lm4ESD_iEESI_T2_iiiiiiiiiiiiiii.has_recursion, 0
	.set _ZN2at6native12_GLOBAL__N_132conv_depthwise2d_backward_kernelILi3ELi1EfiEEvN5torch10headeronly6detail27GenericPackedTensorAccessorINS5_14TensorAccessorIN3c108ArrayRefIlEEKT1_Lm3ENS4_16DefaultPtrTraitsEiEENS_6detail16IndexBoundsCheckILm4EiEESC_Lm4ESD_iEENS6_INS7_ISA_SB_Lm3ESD_iEESH_SB_Lm4ESD_iEESI_T2_iiiiiiiiiiiiiii.has_indirect_call, 0
	.section	.AMDGPU.csdata,"",@progbits
; Kernel info:
; codeLenInByte = 2044
; TotalNumSgprs: 72
; NumVgprs: 25
; ScratchSize: 0
; MemoryBound: 0
; FloatMode: 240
; IeeeMode: 1
; LDSByteSize: 0 bytes/workgroup (compile time only)
; SGPRBlocks: 8
; VGPRBlocks: 6
; NumSGPRsForWavesPerEU: 72
; NumVGPRsForWavesPerEU: 25
; Occupancy: 9
; WaveLimiterHint : 0
; COMPUTE_PGM_RSRC2:SCRATCH_EN: 0
; COMPUTE_PGM_RSRC2:USER_SGPR: 6
; COMPUTE_PGM_RSRC2:TRAP_HANDLER: 0
; COMPUTE_PGM_RSRC2:TGID_X_EN: 1
; COMPUTE_PGM_RSRC2:TGID_Y_EN: 0
; COMPUTE_PGM_RSRC2:TGID_Z_EN: 0
; COMPUTE_PGM_RSRC2:TIDIG_COMP_CNT: 0
	.section	.text._ZN2at6native12_GLOBAL__N_132conv_depthwise2d_backward_kernelILi3ELi2EfiEEvN5torch10headeronly6detail27GenericPackedTensorAccessorINS5_14TensorAccessorIN3c108ArrayRefIlEEKT1_Lm3ENS4_16DefaultPtrTraitsEiEENS_6detail16IndexBoundsCheckILm4EiEESC_Lm4ESD_iEENS6_INS7_ISA_SB_Lm3ESD_iEESH_SB_Lm4ESD_iEESI_T2_iiiiiiiiiiiiiii,"axG",@progbits,_ZN2at6native12_GLOBAL__N_132conv_depthwise2d_backward_kernelILi3ELi2EfiEEvN5torch10headeronly6detail27GenericPackedTensorAccessorINS5_14TensorAccessorIN3c108ArrayRefIlEEKT1_Lm3ENS4_16DefaultPtrTraitsEiEENS_6detail16IndexBoundsCheckILm4EiEESC_Lm4ESD_iEENS6_INS7_ISA_SB_Lm3ESD_iEESH_SB_Lm4ESD_iEESI_T2_iiiiiiiiiiiiiii,comdat
	.globl	_ZN2at6native12_GLOBAL__N_132conv_depthwise2d_backward_kernelILi3ELi2EfiEEvN5torch10headeronly6detail27GenericPackedTensorAccessorINS5_14TensorAccessorIN3c108ArrayRefIlEEKT1_Lm3ENS4_16DefaultPtrTraitsEiEENS_6detail16IndexBoundsCheckILm4EiEESC_Lm4ESD_iEENS6_INS7_ISA_SB_Lm3ESD_iEESH_SB_Lm4ESD_iEESI_T2_iiiiiiiiiiiiiii ; -- Begin function _ZN2at6native12_GLOBAL__N_132conv_depthwise2d_backward_kernelILi3ELi2EfiEEvN5torch10headeronly6detail27GenericPackedTensorAccessorINS5_14TensorAccessorIN3c108ArrayRefIlEEKT1_Lm3ENS4_16DefaultPtrTraitsEiEENS_6detail16IndexBoundsCheckILm4EiEESC_Lm4ESD_iEENS6_INS7_ISA_SB_Lm3ESD_iEESH_SB_Lm4ESD_iEESI_T2_iiiiiiiiiiiiiii
	.p2align	8
	.type	_ZN2at6native12_GLOBAL__N_132conv_depthwise2d_backward_kernelILi3ELi2EfiEEvN5torch10headeronly6detail27GenericPackedTensorAccessorINS5_14TensorAccessorIN3c108ArrayRefIlEEKT1_Lm3ENS4_16DefaultPtrTraitsEiEENS_6detail16IndexBoundsCheckILm4EiEESC_Lm4ESD_iEENS6_INS7_ISA_SB_Lm3ESD_iEESH_SB_Lm4ESD_iEESI_T2_iiiiiiiiiiiiiii,@function
_ZN2at6native12_GLOBAL__N_132conv_depthwise2d_backward_kernelILi3ELi2EfiEEvN5torch10headeronly6detail27GenericPackedTensorAccessorINS5_14TensorAccessorIN3c108ArrayRefIlEEKT1_Lm3ENS4_16DefaultPtrTraitsEiEENS_6detail16IndexBoundsCheckILm4EiEESC_Lm4ESD_iEENS6_INS7_ISA_SB_Lm3ESD_iEESH_SB_Lm4ESD_iEESI_T2_iiiiiiiiiiiiiii: ; @_ZN2at6native12_GLOBAL__N_132conv_depthwise2d_backward_kernelILi3ELi2EfiEEvN5torch10headeronly6detail27GenericPackedTensorAccessorINS5_14TensorAccessorIN3c108ArrayRefIlEEKT1_Lm3ENS4_16DefaultPtrTraitsEiEENS_6detail16IndexBoundsCheckILm4EiEESC_Lm4ESD_iEENS6_INS7_ISA_SB_Lm3ESD_iEESH_SB_Lm4ESD_iEESI_T2_iiiiiiiiiiiiiii
; %bb.0:
	s_load_dword s2, s[4:5], 0xc4
	s_load_dwordx8 s[24:31], s[4:5], 0x78
	s_add_u32 s0, s4, 0xb8
	s_addc_u32 s1, s5, 0
	v_mov_b32_e32 v1, 0
	s_waitcnt lgkmcnt(0)
	s_and_b32 s2, s2, 0xffff
	v_mov_b32_e32 v2, s6
	v_mad_u64_u32 v[0:1], s[6:7], s2, v2, v[0:1]
	s_ashr_i32 s23, s24, 31
	s_mov_b32 s22, s24
	v_cmp_gt_i64_e32 vcc, s[22:23], v[0:1]
	s_and_saveexec_b64 s[6:7], vcc
	s_cbranch_execz .LBB32_25
; %bb.1:
	s_cmp_gt_i32 s26, 0
	s_cselect_b64 s[6:7], -1, 0
	s_abs_i32 s24, s28
	v_cvt_f32_u32_e32 v2, s24
	s_abs_i32 s33, s29
	v_cvt_f32_u32_e32 v3, s33
	s_abs_i32 s48, s25
	v_rcp_iflag_f32_e32 v2, v2
	v_cvt_f32_u32_e32 v4, s48
	v_rcp_iflag_f32_e32 v3, v3
	s_load_dwordx2 s[8:9], s[4:5], 0x98
	s_load_dwordx2 s[34:35], s[4:5], 0x0
	;; [unrolled: 1-line block ×4, first 2 shown]
	s_load_dword s3, s[0:1], 0x0
	v_mul_f32_e32 v2, 0x4f7ffffe, v2
	v_rcp_iflag_f32_e32 v4, v4
	v_cvt_u32_f32_e32 v2, v2
	v_mul_f32_e32 v3, 0x4f7ffffe, v3
	s_sub_i32 s0, 0, s24
	v_cvt_u32_f32_e32 v3, v3
	v_mul_f32_e32 v4, 0x4f7ffffe, v4
	v_mul_lo_u32 v5, s0, v2
	v_cvt_u32_f32_e32 v6, v4
	s_sub_i32 s0, 0, s33
	v_mul_lo_u32 v4, s0, v3
	s_sub_i32 s0, 0, s48
	v_mul_hi_u32 v5, v2, v5
	v_mul_lo_u32 v7, s0, v6
	v_mul_hi_u32 v8, v3, v4
	s_load_dwordx4 s[36:39], s[4:5], 0xa8
	v_add_u32_e32 v4, v2, v5
	v_mul_hi_u32 v2, v6, v7
	s_waitcnt lgkmcnt(0)
	s_mul_i32 s53, s9, s8
	s_mul_i32 s49, s3, s2
	s_ashr_i32 s50, s28, 31
	v_add_u32_e32 v6, v6, v2
	v_cndmask_b32_e64 v2, 0, 1, s[6:7]
	s_ashr_i32 s51, s29, 31
	v_add_u32_e32 v5, v3, v8
	s_ashr_i32 s52, s25, 31
	s_mul_i32 s54, s53, s26
	s_mul_i32 s55, s31, s30
	s_mov_b64 s[44:45], 0
	v_cmp_ne_u32_e64 s[0:1], 1, v2
	s_branch .LBB32_4
.LBB32_2:                               ;   in Loop: Header=BB32_4 Depth=1
	v_mov_b32_e32 v7, 0
.LBB32_3:                               ;   in Loop: Header=BB32_4 Depth=1
	v_lshlrev_b64 v[2:3], 2, v[0:1]
	v_add_co_u32_e32 v0, vcc, s49, v0
	v_addc_co_u32_e32 v1, vcc, 0, v1, vcc
	v_cmp_le_i64_e32 vcc, s[22:23], v[0:1]
	v_mov_b32_e32 v8, s41
	v_add_co_u32_e64 v2, s[2:3], s40, v2
	v_addc_co_u32_e64 v3, s[2:3], v8, v3, s[2:3]
	s_or_b64 s[44:45], vcc, s[44:45]
	global_store_dword v[2:3], v7, off
	s_andn2_b64 exec, exec, s[44:45]
	s_cbranch_execz .LBB32_25
.LBB32_4:                               ; =>This Loop Header: Depth=1
                                        ;     Child Loop BB32_7 Depth 2
	s_and_b64 vcc, exec, s[0:1]
	s_cbranch_vccnz .LBB32_2
; %bb.5:                                ;   in Loop: Header=BB32_4 Depth=1
	v_sub_u32_e32 v2, 0, v0
	v_max_i32_e32 v2, v0, v2
	v_mul_hi_u32 v3, v2, v4
	v_ashrrev_i32_e32 v8, 31, v0
	v_xor_b32_e32 v8, s50, v8
	s_mov_b32 s56, 0
	v_mul_lo_u32 v7, v3, s24
	v_add_u32_e32 v9, 1, v3
	v_sub_u32_e32 v2, v2, v7
	v_cmp_le_u32_e32 vcc, s24, v2
	v_subrev_u32_e32 v7, s24, v2
	v_cndmask_b32_e32 v3, v3, v9, vcc
	v_cndmask_b32_e32 v2, v2, v7, vcc
	v_add_u32_e32 v7, 1, v3
	v_cmp_le_u32_e32 vcc, s24, v2
	v_cndmask_b32_e32 v2, v3, v7, vcc
	v_xor_b32_e32 v2, v2, v8
	v_sub_u32_e32 v2, v2, v8
	v_sub_u32_e32 v3, 0, v2
	v_max_i32_e32 v3, v2, v3
	v_mul_hi_u32 v7, v3, v5
	v_ashrrev_i32_e32 v9, 31, v2
	v_xor_b32_e32 v9, s51, v9
	v_mul_lo_u32 v8, v7, s33
	v_add_u32_e32 v10, 1, v7
	v_sub_u32_e32 v3, v3, v8
	v_cmp_le_u32_e32 vcc, s33, v3
	v_subrev_u32_e32 v8, s33, v3
	v_cndmask_b32_e32 v7, v7, v10, vcc
	v_cndmask_b32_e32 v3, v3, v8, vcc
	v_add_u32_e32 v8, 1, v7
	v_cmp_le_u32_e32 vcc, s33, v3
	v_cndmask_b32_e32 v3, v7, v8, vcc
	v_xor_b32_e32 v3, v3, v9
	v_sub_u32_e32 v3, v3, v9
	v_sub_u32_e32 v7, 0, v3
	v_max_i32_e32 v7, v3, v7
	v_mul_hi_u32 v8, v7, v6
	v_ashrrev_i32_e32 v10, 31, v3
	v_xor_b32_e32 v10, s52, v10
	v_mul_lo_u32 v9, v8, s48
	v_add_u32_e32 v11, 1, v8
	v_sub_u32_e32 v7, v7, v9
	v_cmp_le_u32_e32 vcc, s48, v7
	v_subrev_u32_e32 v9, s48, v7
	v_cndmask_b32_e32 v8, v8, v11, vcc
	v_cndmask_b32_e32 v7, v7, v9, vcc
	v_add_u32_e32 v9, 1, v8
	v_cmp_le_u32_e32 vcc, s48, v7
	v_cndmask_b32_e32 v7, v8, v9, vcc
	v_xor_b32_e32 v7, v7, v10
	v_sub_u32_e32 v7, v7, v10
	v_mul_lo_u32 v8, v7, s25
	v_mul_lo_u32 v10, v2, s28
	v_add_u32_e32 v9, s37, v2
	v_add_u32_e32 v11, s36, v0
	v_sub_u32_e32 v8, v3, v8
	v_mul_lo_u32 v3, v3, s29
	v_mul_lo_u32 v2, v7, s27
	v_sub_u32_e32 v13, v11, v10
	v_add_u32_e32 v10, s38, v10
	v_sub_u32_e32 v7, v9, v3
	v_or_b32_e32 v14, v7, v13
	v_and_b32_e32 v14, 1, v14
	v_cmp_eq_u32_e64 s[4:5], 1, v14
	v_sub_u32_e32 v14, v11, v10
	v_ashrrev_i32_e32 v16, 1, v13
	v_or_b32_e32 v15, v7, v14
	v_add_u32_e32 v10, s38, v10
	v_cmp_lt_i32_e64 s[6:7], -1, v16
	v_cmp_gt_i32_e64 s[8:9], s30, v16
	v_and_b32_e32 v15, 1, v15
	v_sub_u32_e32 v10, v11, v10
	v_ashrrev_i32_e32 v12, 1, v7
	s_and_b64 s[46:47], s[6:7], s[8:9]
	v_cmp_eq_u32_e64 s[6:7], 1, v15
	v_ashrrev_i32_e32 v15, 1, v14
	v_or_b32_e32 v7, v7, v10
	v_add_u32_e32 v3, s39, v3
	v_cmp_lt_i32_e64 s[8:9], -1, v15
	v_cmp_gt_i32_e64 s[10:11], s30, v15
	v_and_b32_e32 v7, 1, v7
	v_sub_u32_e32 v11, v9, v3
	s_and_b64 s[60:61], s[8:9], s[10:11]
	v_cmp_eq_u32_e64 s[8:9], 1, v7
	v_ashrrev_i32_e32 v7, 1, v10
	v_or_b32_e32 v18, v11, v13
	v_cmp_lt_i32_e64 s[10:11], -1, v7
	v_cmp_gt_i32_e64 s[12:13], s30, v7
	v_and_b32_e32 v18, 1, v18
	s_and_b64 s[64:65], s[10:11], s[12:13]
	v_ashrrev_i32_e32 v17, 1, v11
	v_cmp_eq_u32_e64 s[12:13], 1, v18
	v_or_b32_e32 v18, v11, v14
	v_or_b32_e32 v11, v11, v10
	v_add_u32_e32 v3, s39, v3
	v_and_b32_e32 v11, 1, v11
	v_sub_u32_e32 v3, v9, v3
	v_cmp_eq_u32_e64 s[16:17], 1, v11
	v_or_b32_e32 v11, v3, v13
	v_cmp_gt_i32_e64 s[2:3], s31, v12
	v_cmp_gt_i32_e64 s[10:11], s31, v17
	v_and_b32_e32 v18, 1, v18
	v_ashrrev_i32_e32 v9, 1, v3
	v_and_b32_e32 v11, 1, v11
	v_cmp_gt_i32_e32 vcc, 0, v12
	s_and_b64 s[58:59], s[2:3], s[46:47]
	s_and_b64 s[62:63], s[2:3], s[60:61]
	;; [unrolled: 1-line block ×3, first 2 shown]
	v_cmp_gt_i32_e64 s[2:3], 0, v17
	v_cmp_eq_u32_e64 s[14:15], 1, v18
	s_and_b64 s[72:73], s[10:11], s[64:65]
	v_cmp_gt_i32_e64 s[18:19], s31, v9
	v_cmp_eq_u32_e64 s[20:21], 1, v11
	v_or_b32_e32 v11, v3, v14
	v_or_b32_e32 v3, v3, v10
	s_and_b64 s[68:69], s[10:11], s[46:47]
	s_and_b64 s[70:71], s[10:11], s[60:61]
	v_cmp_gt_i32_e64 s[10:11], 0, v9
	s_and_b64 s[74:75], s[18:19], s[46:47]
	v_and_b32_e32 v3, 1, v3
	s_or_b64 s[4:5], s[4:5], vcc
	s_xor_b64 s[46:47], s[58:59], -1
	s_or_b64 s[12:13], s[12:13], s[2:3]
	s_or_b64 s[14:15], s[14:15], s[2:3]
	;; [unrolled: 1-line block ×3, first 2 shown]
	s_xor_b64 s[16:17], s[72:73], -1
	s_nor_b64 s[46:47], s[4:5], s[46:47]
	v_cmp_eq_u32_e64 s[4:5], 1, v3
	s_nor_b64 s[2:3], s[2:3], s[16:17]
	s_or_b64 s[16:17], s[20:21], s[10:11]
	v_mad_u64_u32 v[2:3], s[20:21], v8, s26, v[2:3]
	v_and_b32_e32 v11, 1, v11
	s_and_b64 s[60:61], s[18:19], s[60:61]
	v_mul_lo_u32 v3, s31, v2
	s_and_b64 s[64:65], s[18:19], s[64:65]
	v_cmp_eq_u32_e64 s[18:19], 1, v11
	s_or_b64 s[6:7], s[6:7], vcc
	v_add_u32_e32 v2, v9, v3
	v_add_u32_e32 v11, v17, v3
	;; [unrolled: 1-line block ×3, first 2 shown]
	s_xor_b64 s[58:59], s[62:63], -1
	v_mul_lo_u32 v10, s30, v2
	v_mul_lo_u32 v13, s30, v11
	;; [unrolled: 1-line block ×3, first 2 shown]
	s_nor_b64 s[6:7], s[6:7], s[58:59]
	s_or_b64 s[8:9], s[8:9], vcc
	s_xor_b64 s[58:59], s[66:67], -1
	v_mul_lo_u32 v2, s54, v8
	s_nor_b64 s[8:9], s[8:9], s[58:59]
	s_xor_b64 s[58:59], s[68:69], -1
	s_xor_b64 s[20:21], s[74:75], -1
	s_nor_b64 s[12:13], s[12:13], s[58:59]
	s_xor_b64 s[58:59], s[70:71], -1
	s_nor_b64 s[16:17], s[16:17], s[20:21]
	s_or_b64 s[18:19], s[18:19], s[10:11]
	s_xor_b64 s[20:21], s[60:61], -1
	s_or_b64 s[4:5], s[4:5], s[10:11]
	s_xor_b64 s[10:11], s[64:65], -1
	s_nor_b64 s[14:15], s[14:15], s[58:59]
	s_nor_b64 s[18:19], s[18:19], s[20:21]
	;; [unrolled: 1-line block ×3, first 2 shown]
	v_add_u32_e32 v8, v7, v10
	v_add_u32_e32 v9, v15, v10
	;; [unrolled: 1-line block ×9, first 2 shown]
	v_mov_b32_e32 v7, 0
	s_mov_b32 s20, s26
	s_branch .LBB32_7
.LBB32_6:                               ;   in Loop: Header=BB32_7 Depth=2
	s_or_b64 exec, exec, s[10:11]
	s_add_i32 s20, s20, -1
	s_add_i32 s56, s56, s55
	s_cmp_eq_u32 s20, 0
	v_add_u32_e32 v2, s53, v2
	s_cbranch_scc1 .LBB32_3
.LBB32_7:                               ;   Parent Loop BB32_4 Depth=1
                                        ; =>  This Inner Loop Header: Depth=2
	v_ashrrev_i32_e32 v3, 31, v2
	s_and_saveexec_b64 s[10:11], s[46:47]
	s_cbranch_execnz .LBB32_16
; %bb.8:                                ;   in Loop: Header=BB32_7 Depth=2
	s_or_b64 exec, exec, s[10:11]
	s_and_saveexec_b64 s[10:11], s[6:7]
	s_cbranch_execnz .LBB32_17
.LBB32_9:                               ;   in Loop: Header=BB32_7 Depth=2
	s_or_b64 exec, exec, s[10:11]
	s_and_saveexec_b64 s[10:11], s[8:9]
	s_cbranch_execnz .LBB32_18
.LBB32_10:                              ;   in Loop: Header=BB32_7 Depth=2
	s_or_b64 exec, exec, s[10:11]
	s_and_saveexec_b64 s[10:11], s[12:13]
	s_cbranch_execnz .LBB32_19
.LBB32_11:                              ;   in Loop: Header=BB32_7 Depth=2
	s_or_b64 exec, exec, s[10:11]
	s_and_saveexec_b64 s[10:11], s[14:15]
	s_cbranch_execnz .LBB32_20
.LBB32_12:                              ;   in Loop: Header=BB32_7 Depth=2
	s_or_b64 exec, exec, s[10:11]
	s_and_saveexec_b64 s[10:11], s[2:3]
	s_cbranch_execnz .LBB32_21
.LBB32_13:                              ;   in Loop: Header=BB32_7 Depth=2
	s_or_b64 exec, exec, s[10:11]
	s_and_saveexec_b64 s[10:11], s[16:17]
	s_cbranch_execnz .LBB32_22
.LBB32_14:                              ;   in Loop: Header=BB32_7 Depth=2
	s_or_b64 exec, exec, s[10:11]
	s_and_saveexec_b64 s[10:11], s[18:19]
	s_cbranch_execnz .LBB32_23
.LBB32_15:                              ;   in Loop: Header=BB32_7 Depth=2
	s_or_b64 exec, exec, s[10:11]
	s_and_saveexec_b64 s[10:11], s[4:5]
	s_cbranch_execz .LBB32_6
	s_branch .LBB32_24
.LBB32_16:                              ;   in Loop: Header=BB32_7 Depth=2
	v_lshlrev_b64 v[18:19], 2, v[2:3]
	v_mov_b32_e32 v20, s43
	v_add_co_u32_e32 v18, vcc, s42, v18
	v_add_u32_e32 v17, s56, v16
	v_addc_co_u32_e32 v19, vcc, v20, v19, vcc
	global_load_dword v19, v[18:19], off
	v_ashrrev_i32_e32 v18, 31, v17
	v_lshlrev_b64 v[17:18], 2, v[17:18]
	v_mov_b32_e32 v20, s35
	v_add_co_u32_e32 v17, vcc, s34, v17
	v_addc_co_u32_e32 v18, vcc, v20, v18, vcc
	global_load_dword v17, v[17:18], off
	s_waitcnt vmcnt(0)
	v_fmac_f32_e32 v7, v19, v17
	s_or_b64 exec, exec, s[10:11]
	s_and_saveexec_b64 s[10:11], s[6:7]
	s_cbranch_execz .LBB32_9
.LBB32_17:                              ;   in Loop: Header=BB32_7 Depth=2
	v_lshlrev_b64 v[18:19], 2, v[2:3]
	v_mov_b32_e32 v20, s43
	v_add_co_u32_e32 v18, vcc, s42, v18
	v_add_u32_e32 v17, s56, v15
	v_addc_co_u32_e32 v19, vcc, v20, v19, vcc
	global_load_dword v19, v[18:19], off offset:4
	v_ashrrev_i32_e32 v18, 31, v17
	v_lshlrev_b64 v[17:18], 2, v[17:18]
	v_mov_b32_e32 v20, s35
	v_add_co_u32_e32 v17, vcc, s34, v17
	v_addc_co_u32_e32 v18, vcc, v20, v18, vcc
	global_load_dword v17, v[17:18], off
	s_waitcnt vmcnt(0)
	v_fmac_f32_e32 v7, v19, v17
	s_or_b64 exec, exec, s[10:11]
	s_and_saveexec_b64 s[10:11], s[8:9]
	s_cbranch_execz .LBB32_10
.LBB32_18:                              ;   in Loop: Header=BB32_7 Depth=2
	v_lshlrev_b64 v[18:19], 2, v[2:3]
	v_mov_b32_e32 v20, s43
	v_add_co_u32_e32 v18, vcc, s42, v18
	v_add_u32_e32 v17, s56, v14
	v_addc_co_u32_e32 v19, vcc, v20, v19, vcc
	global_load_dword v19, v[18:19], off offset:8
	v_ashrrev_i32_e32 v18, 31, v17
	v_lshlrev_b64 v[17:18], 2, v[17:18]
	v_mov_b32_e32 v20, s35
	v_add_co_u32_e32 v17, vcc, s34, v17
	v_addc_co_u32_e32 v18, vcc, v20, v18, vcc
	global_load_dword v17, v[17:18], off
	s_waitcnt vmcnt(0)
	v_fmac_f32_e32 v7, v19, v17
	s_or_b64 exec, exec, s[10:11]
	s_and_saveexec_b64 s[10:11], s[12:13]
	s_cbranch_execz .LBB32_11
.LBB32_19:                              ;   in Loop: Header=BB32_7 Depth=2
	v_lshlrev_b64 v[18:19], 2, v[2:3]
	v_mov_b32_e32 v20, s43
	v_add_co_u32_e32 v18, vcc, s42, v18
	v_add_u32_e32 v17, s56, v13
	v_addc_co_u32_e32 v19, vcc, v20, v19, vcc
	global_load_dword v19, v[18:19], off offset:12
	v_ashrrev_i32_e32 v18, 31, v17
	v_lshlrev_b64 v[17:18], 2, v[17:18]
	v_mov_b32_e32 v20, s35
	v_add_co_u32_e32 v17, vcc, s34, v17
	v_addc_co_u32_e32 v18, vcc, v20, v18, vcc
	global_load_dword v17, v[17:18], off
	s_waitcnt vmcnt(0)
	v_fmac_f32_e32 v7, v19, v17
	s_or_b64 exec, exec, s[10:11]
	s_and_saveexec_b64 s[10:11], s[14:15]
	s_cbranch_execz .LBB32_12
.LBB32_20:                              ;   in Loop: Header=BB32_7 Depth=2
	v_lshlrev_b64 v[18:19], 2, v[2:3]
	v_mov_b32_e32 v20, s43
	v_add_co_u32_e32 v18, vcc, s42, v18
	v_add_u32_e32 v17, s56, v12
	v_addc_co_u32_e32 v19, vcc, v20, v19, vcc
	global_load_dword v19, v[18:19], off offset:16
	v_ashrrev_i32_e32 v18, 31, v17
	v_lshlrev_b64 v[17:18], 2, v[17:18]
	v_mov_b32_e32 v20, s35
	v_add_co_u32_e32 v17, vcc, s34, v17
	v_addc_co_u32_e32 v18, vcc, v20, v18, vcc
	global_load_dword v17, v[17:18], off
	s_waitcnt vmcnt(0)
	v_fmac_f32_e32 v7, v19, v17
	s_or_b64 exec, exec, s[10:11]
	s_and_saveexec_b64 s[10:11], s[2:3]
	s_cbranch_execz .LBB32_13
.LBB32_21:                              ;   in Loop: Header=BB32_7 Depth=2
	v_lshlrev_b64 v[18:19], 2, v[2:3]
	v_mov_b32_e32 v20, s43
	v_add_co_u32_e32 v18, vcc, s42, v18
	v_add_u32_e32 v17, s56, v11
	v_addc_co_u32_e32 v19, vcc, v20, v19, vcc
	global_load_dword v19, v[18:19], off offset:20
	v_ashrrev_i32_e32 v18, 31, v17
	v_lshlrev_b64 v[17:18], 2, v[17:18]
	v_mov_b32_e32 v20, s35
	v_add_co_u32_e32 v17, vcc, s34, v17
	v_addc_co_u32_e32 v18, vcc, v20, v18, vcc
	global_load_dword v17, v[17:18], off
	s_waitcnt vmcnt(0)
	v_fmac_f32_e32 v7, v19, v17
	s_or_b64 exec, exec, s[10:11]
	s_and_saveexec_b64 s[10:11], s[16:17]
	s_cbranch_execz .LBB32_14
.LBB32_22:                              ;   in Loop: Header=BB32_7 Depth=2
	v_lshlrev_b64 v[18:19], 2, v[2:3]
	v_mov_b32_e32 v20, s43
	v_add_co_u32_e32 v18, vcc, s42, v18
	v_add_u32_e32 v17, s56, v10
	v_addc_co_u32_e32 v19, vcc, v20, v19, vcc
	global_load_dword v19, v[18:19], off offset:24
	v_ashrrev_i32_e32 v18, 31, v17
	v_lshlrev_b64 v[17:18], 2, v[17:18]
	v_mov_b32_e32 v20, s35
	v_add_co_u32_e32 v17, vcc, s34, v17
	v_addc_co_u32_e32 v18, vcc, v20, v18, vcc
	global_load_dword v17, v[17:18], off
	s_waitcnt vmcnt(0)
	v_fmac_f32_e32 v7, v19, v17
	s_or_b64 exec, exec, s[10:11]
	s_and_saveexec_b64 s[10:11], s[18:19]
	s_cbranch_execz .LBB32_15
.LBB32_23:                              ;   in Loop: Header=BB32_7 Depth=2
	v_lshlrev_b64 v[18:19], 2, v[2:3]
	v_mov_b32_e32 v20, s43
	v_add_co_u32_e32 v18, vcc, s42, v18
	v_add_u32_e32 v17, s56, v9
	v_addc_co_u32_e32 v19, vcc, v20, v19, vcc
	global_load_dword v19, v[18:19], off offset:28
	v_ashrrev_i32_e32 v18, 31, v17
	v_lshlrev_b64 v[17:18], 2, v[17:18]
	v_mov_b32_e32 v20, s35
	v_add_co_u32_e32 v17, vcc, s34, v17
	v_addc_co_u32_e32 v18, vcc, v20, v18, vcc
	global_load_dword v17, v[17:18], off
	s_waitcnt vmcnt(0)
	v_fmac_f32_e32 v7, v19, v17
	s_or_b64 exec, exec, s[10:11]
	s_and_saveexec_b64 s[10:11], s[4:5]
	s_cbranch_execz .LBB32_6
.LBB32_24:                              ;   in Loop: Header=BB32_7 Depth=2
	v_lshlrev_b64 v[18:19], 2, v[2:3]
	v_mov_b32_e32 v3, s43
	v_add_co_u32_e32 v18, vcc, s42, v18
	v_add_u32_e32 v17, s56, v8
	v_addc_co_u32_e32 v19, vcc, v3, v19, vcc
	global_load_dword v3, v[18:19], off offset:32
	v_ashrrev_i32_e32 v18, 31, v17
	v_lshlrev_b64 v[17:18], 2, v[17:18]
	v_mov_b32_e32 v19, s35
	v_add_co_u32_e32 v17, vcc, s34, v17
	v_addc_co_u32_e32 v18, vcc, v19, v18, vcc
	global_load_dword v17, v[17:18], off
	s_waitcnt vmcnt(0)
	v_fmac_f32_e32 v7, v3, v17
	s_branch .LBB32_6
.LBB32_25:
	s_endpgm
	.section	.rodata,"a",@progbits
	.p2align	6, 0x0
	.amdhsa_kernel _ZN2at6native12_GLOBAL__N_132conv_depthwise2d_backward_kernelILi3ELi2EfiEEvN5torch10headeronly6detail27GenericPackedTensorAccessorINS5_14TensorAccessorIN3c108ArrayRefIlEEKT1_Lm3ENS4_16DefaultPtrTraitsEiEENS_6detail16IndexBoundsCheckILm4EiEESC_Lm4ESD_iEENS6_INS7_ISA_SB_Lm3ESD_iEESH_SB_Lm4ESD_iEESI_T2_iiiiiiiiiiiiiii
		.amdhsa_group_segment_fixed_size 0
		.amdhsa_private_segment_fixed_size 0
		.amdhsa_kernarg_size 440
		.amdhsa_user_sgpr_count 6
		.amdhsa_user_sgpr_private_segment_buffer 1
		.amdhsa_user_sgpr_dispatch_ptr 0
		.amdhsa_user_sgpr_queue_ptr 0
		.amdhsa_user_sgpr_kernarg_segment_ptr 1
		.amdhsa_user_sgpr_dispatch_id 0
		.amdhsa_user_sgpr_flat_scratch_init 0
		.amdhsa_user_sgpr_private_segment_size 0
		.amdhsa_uses_dynamic_stack 0
		.amdhsa_system_sgpr_private_segment_wavefront_offset 0
		.amdhsa_system_sgpr_workgroup_id_x 1
		.amdhsa_system_sgpr_workgroup_id_y 0
		.amdhsa_system_sgpr_workgroup_id_z 0
		.amdhsa_system_sgpr_workgroup_info 0
		.amdhsa_system_vgpr_workitem_id 0
		.amdhsa_next_free_vgpr 21
		.amdhsa_next_free_sgpr 76
		.amdhsa_reserve_vcc 1
		.amdhsa_reserve_flat_scratch 0
		.amdhsa_float_round_mode_32 0
		.amdhsa_float_round_mode_16_64 0
		.amdhsa_float_denorm_mode_32 3
		.amdhsa_float_denorm_mode_16_64 3
		.amdhsa_dx10_clamp 1
		.amdhsa_ieee_mode 1
		.amdhsa_fp16_overflow 0
		.amdhsa_exception_fp_ieee_invalid_op 0
		.amdhsa_exception_fp_denorm_src 0
		.amdhsa_exception_fp_ieee_div_zero 0
		.amdhsa_exception_fp_ieee_overflow 0
		.amdhsa_exception_fp_ieee_underflow 0
		.amdhsa_exception_fp_ieee_inexact 0
		.amdhsa_exception_int_div_zero 0
	.end_amdhsa_kernel
	.section	.text._ZN2at6native12_GLOBAL__N_132conv_depthwise2d_backward_kernelILi3ELi2EfiEEvN5torch10headeronly6detail27GenericPackedTensorAccessorINS5_14TensorAccessorIN3c108ArrayRefIlEEKT1_Lm3ENS4_16DefaultPtrTraitsEiEENS_6detail16IndexBoundsCheckILm4EiEESC_Lm4ESD_iEENS6_INS7_ISA_SB_Lm3ESD_iEESH_SB_Lm4ESD_iEESI_T2_iiiiiiiiiiiiiii,"axG",@progbits,_ZN2at6native12_GLOBAL__N_132conv_depthwise2d_backward_kernelILi3ELi2EfiEEvN5torch10headeronly6detail27GenericPackedTensorAccessorINS5_14TensorAccessorIN3c108ArrayRefIlEEKT1_Lm3ENS4_16DefaultPtrTraitsEiEENS_6detail16IndexBoundsCheckILm4EiEESC_Lm4ESD_iEENS6_INS7_ISA_SB_Lm3ESD_iEESH_SB_Lm4ESD_iEESI_T2_iiiiiiiiiiiiiii,comdat
.Lfunc_end32:
	.size	_ZN2at6native12_GLOBAL__N_132conv_depthwise2d_backward_kernelILi3ELi2EfiEEvN5torch10headeronly6detail27GenericPackedTensorAccessorINS5_14TensorAccessorIN3c108ArrayRefIlEEKT1_Lm3ENS4_16DefaultPtrTraitsEiEENS_6detail16IndexBoundsCheckILm4EiEESC_Lm4ESD_iEENS6_INS7_ISA_SB_Lm3ESD_iEESH_SB_Lm4ESD_iEESI_T2_iiiiiiiiiiiiiii, .Lfunc_end32-_ZN2at6native12_GLOBAL__N_132conv_depthwise2d_backward_kernelILi3ELi2EfiEEvN5torch10headeronly6detail27GenericPackedTensorAccessorINS5_14TensorAccessorIN3c108ArrayRefIlEEKT1_Lm3ENS4_16DefaultPtrTraitsEiEENS_6detail16IndexBoundsCheckILm4EiEESC_Lm4ESD_iEENS6_INS7_ISA_SB_Lm3ESD_iEESH_SB_Lm4ESD_iEESI_T2_iiiiiiiiiiiiiii
                                        ; -- End function
	.set _ZN2at6native12_GLOBAL__N_132conv_depthwise2d_backward_kernelILi3ELi2EfiEEvN5torch10headeronly6detail27GenericPackedTensorAccessorINS5_14TensorAccessorIN3c108ArrayRefIlEEKT1_Lm3ENS4_16DefaultPtrTraitsEiEENS_6detail16IndexBoundsCheckILm4EiEESC_Lm4ESD_iEENS6_INS7_ISA_SB_Lm3ESD_iEESH_SB_Lm4ESD_iEESI_T2_iiiiiiiiiiiiiii.num_vgpr, 21
	.set _ZN2at6native12_GLOBAL__N_132conv_depthwise2d_backward_kernelILi3ELi2EfiEEvN5torch10headeronly6detail27GenericPackedTensorAccessorINS5_14TensorAccessorIN3c108ArrayRefIlEEKT1_Lm3ENS4_16DefaultPtrTraitsEiEENS_6detail16IndexBoundsCheckILm4EiEESC_Lm4ESD_iEENS6_INS7_ISA_SB_Lm3ESD_iEESH_SB_Lm4ESD_iEESI_T2_iiiiiiiiiiiiiii.num_agpr, 0
	.set _ZN2at6native12_GLOBAL__N_132conv_depthwise2d_backward_kernelILi3ELi2EfiEEvN5torch10headeronly6detail27GenericPackedTensorAccessorINS5_14TensorAccessorIN3c108ArrayRefIlEEKT1_Lm3ENS4_16DefaultPtrTraitsEiEENS_6detail16IndexBoundsCheckILm4EiEESC_Lm4ESD_iEENS6_INS7_ISA_SB_Lm3ESD_iEESH_SB_Lm4ESD_iEESI_T2_iiiiiiiiiiiiiii.numbered_sgpr, 76
	.set _ZN2at6native12_GLOBAL__N_132conv_depthwise2d_backward_kernelILi3ELi2EfiEEvN5torch10headeronly6detail27GenericPackedTensorAccessorINS5_14TensorAccessorIN3c108ArrayRefIlEEKT1_Lm3ENS4_16DefaultPtrTraitsEiEENS_6detail16IndexBoundsCheckILm4EiEESC_Lm4ESD_iEENS6_INS7_ISA_SB_Lm3ESD_iEESH_SB_Lm4ESD_iEESI_T2_iiiiiiiiiiiiiii.num_named_barrier, 0
	.set _ZN2at6native12_GLOBAL__N_132conv_depthwise2d_backward_kernelILi3ELi2EfiEEvN5torch10headeronly6detail27GenericPackedTensorAccessorINS5_14TensorAccessorIN3c108ArrayRefIlEEKT1_Lm3ENS4_16DefaultPtrTraitsEiEENS_6detail16IndexBoundsCheckILm4EiEESC_Lm4ESD_iEENS6_INS7_ISA_SB_Lm3ESD_iEESH_SB_Lm4ESD_iEESI_T2_iiiiiiiiiiiiiii.private_seg_size, 0
	.set _ZN2at6native12_GLOBAL__N_132conv_depthwise2d_backward_kernelILi3ELi2EfiEEvN5torch10headeronly6detail27GenericPackedTensorAccessorINS5_14TensorAccessorIN3c108ArrayRefIlEEKT1_Lm3ENS4_16DefaultPtrTraitsEiEENS_6detail16IndexBoundsCheckILm4EiEESC_Lm4ESD_iEENS6_INS7_ISA_SB_Lm3ESD_iEESH_SB_Lm4ESD_iEESI_T2_iiiiiiiiiiiiiii.uses_vcc, 1
	.set _ZN2at6native12_GLOBAL__N_132conv_depthwise2d_backward_kernelILi3ELi2EfiEEvN5torch10headeronly6detail27GenericPackedTensorAccessorINS5_14TensorAccessorIN3c108ArrayRefIlEEKT1_Lm3ENS4_16DefaultPtrTraitsEiEENS_6detail16IndexBoundsCheckILm4EiEESC_Lm4ESD_iEENS6_INS7_ISA_SB_Lm3ESD_iEESH_SB_Lm4ESD_iEESI_T2_iiiiiiiiiiiiiii.uses_flat_scratch, 0
	.set _ZN2at6native12_GLOBAL__N_132conv_depthwise2d_backward_kernelILi3ELi2EfiEEvN5torch10headeronly6detail27GenericPackedTensorAccessorINS5_14TensorAccessorIN3c108ArrayRefIlEEKT1_Lm3ENS4_16DefaultPtrTraitsEiEENS_6detail16IndexBoundsCheckILm4EiEESC_Lm4ESD_iEENS6_INS7_ISA_SB_Lm3ESD_iEESH_SB_Lm4ESD_iEESI_T2_iiiiiiiiiiiiiii.has_dyn_sized_stack, 0
	.set _ZN2at6native12_GLOBAL__N_132conv_depthwise2d_backward_kernelILi3ELi2EfiEEvN5torch10headeronly6detail27GenericPackedTensorAccessorINS5_14TensorAccessorIN3c108ArrayRefIlEEKT1_Lm3ENS4_16DefaultPtrTraitsEiEENS_6detail16IndexBoundsCheckILm4EiEESC_Lm4ESD_iEENS6_INS7_ISA_SB_Lm3ESD_iEESH_SB_Lm4ESD_iEESI_T2_iiiiiiiiiiiiiii.has_recursion, 0
	.set _ZN2at6native12_GLOBAL__N_132conv_depthwise2d_backward_kernelILi3ELi2EfiEEvN5torch10headeronly6detail27GenericPackedTensorAccessorINS5_14TensorAccessorIN3c108ArrayRefIlEEKT1_Lm3ENS4_16DefaultPtrTraitsEiEENS_6detail16IndexBoundsCheckILm4EiEESC_Lm4ESD_iEENS6_INS7_ISA_SB_Lm3ESD_iEESH_SB_Lm4ESD_iEESI_T2_iiiiiiiiiiiiiii.has_indirect_call, 0
	.section	.AMDGPU.csdata,"",@progbits
; Kernel info:
; codeLenInByte = 2132
; TotalNumSgprs: 80
; NumVgprs: 21
; ScratchSize: 0
; MemoryBound: 0
; FloatMode: 240
; IeeeMode: 1
; LDSByteSize: 0 bytes/workgroup (compile time only)
; SGPRBlocks: 9
; VGPRBlocks: 5
; NumSGPRsForWavesPerEU: 80
; NumVGPRsForWavesPerEU: 21
; Occupancy: 10
; WaveLimiterHint : 0
; COMPUTE_PGM_RSRC2:SCRATCH_EN: 0
; COMPUTE_PGM_RSRC2:USER_SGPR: 6
; COMPUTE_PGM_RSRC2:TRAP_HANDLER: 0
; COMPUTE_PGM_RSRC2:TGID_X_EN: 1
; COMPUTE_PGM_RSRC2:TGID_Y_EN: 0
; COMPUTE_PGM_RSRC2:TGID_Z_EN: 0
; COMPUTE_PGM_RSRC2:TIDIG_COMP_CNT: 0
	.section	.text._ZN2at6native12_GLOBAL__N_132conv_depthwise2d_backward_kernelILi3ELi0EfiEEvN5torch10headeronly6detail27GenericPackedTensorAccessorINS5_14TensorAccessorIN3c108ArrayRefIlEEKT1_Lm3ENS4_16DefaultPtrTraitsEiEENS_6detail16IndexBoundsCheckILm4EiEESC_Lm4ESD_iEENS6_INS7_ISA_SB_Lm3ESD_iEESH_SB_Lm4ESD_iEESI_T2_iiiiiiiiiiiiiii,"axG",@progbits,_ZN2at6native12_GLOBAL__N_132conv_depthwise2d_backward_kernelILi3ELi0EfiEEvN5torch10headeronly6detail27GenericPackedTensorAccessorINS5_14TensorAccessorIN3c108ArrayRefIlEEKT1_Lm3ENS4_16DefaultPtrTraitsEiEENS_6detail16IndexBoundsCheckILm4EiEESC_Lm4ESD_iEENS6_INS7_ISA_SB_Lm3ESD_iEESH_SB_Lm4ESD_iEESI_T2_iiiiiiiiiiiiiii,comdat
	.globl	_ZN2at6native12_GLOBAL__N_132conv_depthwise2d_backward_kernelILi3ELi0EfiEEvN5torch10headeronly6detail27GenericPackedTensorAccessorINS5_14TensorAccessorIN3c108ArrayRefIlEEKT1_Lm3ENS4_16DefaultPtrTraitsEiEENS_6detail16IndexBoundsCheckILm4EiEESC_Lm4ESD_iEENS6_INS7_ISA_SB_Lm3ESD_iEESH_SB_Lm4ESD_iEESI_T2_iiiiiiiiiiiiiii ; -- Begin function _ZN2at6native12_GLOBAL__N_132conv_depthwise2d_backward_kernelILi3ELi0EfiEEvN5torch10headeronly6detail27GenericPackedTensorAccessorINS5_14TensorAccessorIN3c108ArrayRefIlEEKT1_Lm3ENS4_16DefaultPtrTraitsEiEENS_6detail16IndexBoundsCheckILm4EiEESC_Lm4ESD_iEENS6_INS7_ISA_SB_Lm3ESD_iEESH_SB_Lm4ESD_iEESI_T2_iiiiiiiiiiiiiii
	.p2align	8
	.type	_ZN2at6native12_GLOBAL__N_132conv_depthwise2d_backward_kernelILi3ELi0EfiEEvN5torch10headeronly6detail27GenericPackedTensorAccessorINS5_14TensorAccessorIN3c108ArrayRefIlEEKT1_Lm3ENS4_16DefaultPtrTraitsEiEENS_6detail16IndexBoundsCheckILm4EiEESC_Lm4ESD_iEENS6_INS7_ISA_SB_Lm3ESD_iEESH_SB_Lm4ESD_iEESI_T2_iiiiiiiiiiiiiii,@function
_ZN2at6native12_GLOBAL__N_132conv_depthwise2d_backward_kernelILi3ELi0EfiEEvN5torch10headeronly6detail27GenericPackedTensorAccessorINS5_14TensorAccessorIN3c108ArrayRefIlEEKT1_Lm3ENS4_16DefaultPtrTraitsEiEENS_6detail16IndexBoundsCheckILm4EiEESC_Lm4ESD_iEENS6_INS7_ISA_SB_Lm3ESD_iEESH_SB_Lm4ESD_iEESI_T2_iiiiiiiiiiiiiii: ; @_ZN2at6native12_GLOBAL__N_132conv_depthwise2d_backward_kernelILi3ELi0EfiEEvN5torch10headeronly6detail27GenericPackedTensorAccessorINS5_14TensorAccessorIN3c108ArrayRefIlEEKT1_Lm3ENS4_16DefaultPtrTraitsEiEENS_6detail16IndexBoundsCheckILm4EiEESC_Lm4ESD_iEENS6_INS7_ISA_SB_Lm3ESD_iEESH_SB_Lm4ESD_iEESI_T2_iiiiiiiiiiiiiii
; %bb.0:
	s_load_dword s2, s[4:5], 0xc4
	s_load_dwordx16 s[36:51], s[4:5], 0x78
	s_add_u32 s0, s4, 0xb8
	s_addc_u32 s1, s5, 0
	v_mov_b32_e32 v1, 0
	s_waitcnt lgkmcnt(0)
	s_and_b32 s2, s2, 0xffff
	v_mov_b32_e32 v2, s6
	v_mad_u64_u32 v[0:1], s[6:7], s2, v2, v[0:1]
	s_ashr_i32 s29, s36, 31
	s_mov_b32 s28, s36
	v_cmp_gt_i64_e32 vcc, s[28:29], v[0:1]
	s_and_saveexec_b64 s[6:7], vcc
	s_cbranch_execz .LBB33_77
; %bb.1:
	s_cmp_gt_i32 s38, 0
	s_load_dword s3, s[0:1], 0x0
	s_cselect_b64 s[0:1], -1, 0
	s_abs_i32 s33, s40
	v_cvt_f32_u32_e32 v2, s33
	s_abs_i32 s36, s41
	v_cvt_f32_u32_e32 v3, s36
	s_abs_i32 s80, s37
	v_rcp_iflag_f32_e32 v2, v2
	s_waitcnt lgkmcnt(0)
	s_mul_i32 s78, s3, s2
	v_rcp_iflag_f32_e32 v3, v3
	s_sub_i32 s2, 0, s33
	v_mul_f32_e32 v2, 0x4f7ffffe, v2
	v_cvt_u32_f32_e32 v2, v2
	v_mul_f32_e32 v3, 0x4f7ffffe, v3
	v_cvt_f32_u32_e32 v5, s80
	v_cvt_u32_f32_e32 v3, v3
	v_mul_lo_u32 v4, s2, v2
	s_sub_i32 s2, 0, s36
	v_rcp_iflag_f32_e32 v5, v5
	v_mul_lo_u32 v6, s2, v3
	v_mul_hi_u32 v4, v2, v4
	s_abs_i32 s82, s47
	v_mul_f32_e32 v5, 0x4f7ffffe, v5
	s_abs_i32 s83, s46
	v_add_u32_e32 v4, v2, v4
	v_mul_hi_u32 v2, v3, v6
	v_cvt_u32_f32_e32 v6, v5
	v_cvt_f32_u32_e32 v5, s82
	v_cvt_f32_u32_e32 v7, s83
	s_sub_i32 s2, 0, s80
	v_mul_lo_u32 v8, s2, v6
	v_rcp_iflag_f32_e32 v9, v5
	v_add_u32_e32 v5, v3, v2
	v_rcp_iflag_f32_e32 v2, v7
	s_sub_i32 s2, 0, s82
	v_mul_f32_e32 v7, 0x4f7ffffe, v9
	v_cvt_u32_f32_e32 v7, v7
	v_mul_f32_e32 v2, 0x4f7ffffe, v2
	v_cvt_u32_f32_e32 v2, v2
	v_mul_hi_u32 v3, v6, v8
	v_mul_lo_u32 v8, s2, v7
	s_sub_i32 s2, 0, s83
	v_mul_lo_u32 v9, s2, v2
	s_load_dwordx2 s[30:31], s[4:5], 0x0
	s_load_dwordx2 s[34:35], s[4:5], 0x28
	;; [unrolled: 1-line block ×3, first 2 shown]
	v_mul_hi_u32 v8, v7, v8
	v_add_u32_e32 v6, v6, v3
	v_mul_hi_u32 v3, v2, v9
	s_mul_i32 s87, s45, s44
	v_add_u32_e32 v7, v7, v8
	s_ashr_i32 s79, s40, 31
	v_add_u32_e32 v8, v2, v3
	v_cndmask_b32_e64 v2, 0, 1, s[0:1]
	s_ashr_i32 s81, s41, 31
	s_ashr_i32 s84, s37, 31
	;; [unrolled: 1-line block ×4, first 2 shown]
	s_mul_i32 s88, s87, s38
	s_mul_i32 s89, s43, s42
	s_mov_b64 s[44:45], 0
	v_cmp_ne_u32_e64 s[0:1], 1, v2
	s_branch .LBB33_4
.LBB33_2:                               ;   in Loop: Header=BB33_4 Depth=1
	v_mov_b32_e32 v9, 0
.LBB33_3:                               ;   in Loop: Header=BB33_4 Depth=1
	v_lshlrev_b64 v[2:3], 2, v[0:1]
	v_add_co_u32_e32 v0, vcc, s78, v0
	v_addc_co_u32_e32 v1, vcc, 0, v1, vcc
	v_cmp_le_i64_e32 vcc, s[28:29], v[0:1]
	s_waitcnt lgkmcnt(0)
	v_mov_b32_e32 v10, s35
	v_add_co_u32_e64 v2, s[2:3], s34, v2
	v_addc_co_u32_e64 v3, s[2:3], v10, v3, s[2:3]
	s_or_b64 s[44:45], vcc, s[44:45]
	global_store_dword v[2:3], v9, off
	s_andn2_b64 exec, exec, s[44:45]
	s_cbranch_execz .LBB33_77
.LBB33_4:                               ; =>This Loop Header: Depth=1
                                        ;     Child Loop BB33_9 Depth 2
	s_and_b64 vcc, exec, s[0:1]
	s_cbranch_vccnz .LBB33_2
; %bb.5:                                ;   in Loop: Header=BB33_4 Depth=1
	v_sub_u32_e32 v2, 0, v0
	v_max_i32_e32 v2, v0, v2
	v_mul_hi_u32 v3, v2, v4
	v_ashrrev_i32_e32 v10, 31, v0
	v_xor_b32_e32 v10, s79, v10
	s_mov_b32 s90, 0
	v_mul_lo_u32 v9, v3, s33
	v_add_u32_e32 v11, 1, v3
	s_mov_b32 s91, s38
	v_sub_u32_e32 v2, v2, v9
	v_subrev_u32_e32 v9, s33, v2
	v_cmp_le_u32_e32 vcc, s33, v2
	v_cndmask_b32_e32 v3, v3, v11, vcc
	v_cndmask_b32_e32 v2, v2, v9, vcc
	v_add_u32_e32 v9, 1, v3
	v_cmp_le_u32_e32 vcc, s33, v2
	v_cndmask_b32_e32 v2, v3, v9, vcc
	v_xor_b32_e32 v2, v2, v10
	v_sub_u32_e32 v11, v2, v10
	v_sub_u32_e32 v2, 0, v11
	v_max_i32_e32 v2, v11, v2
	v_mul_hi_u32 v3, v2, v5
	v_ashrrev_i32_e32 v10, 31, v11
	v_xor_b32_e32 v10, s81, v10
	v_mul_lo_u32 v9, v3, s36
	v_add_u32_e32 v12, 1, v3
	v_sub_u32_e32 v2, v2, v9
	v_subrev_u32_e32 v9, s36, v2
	v_cmp_le_u32_e32 vcc, s36, v2
	v_cndmask_b32_e32 v3, v3, v12, vcc
	v_cndmask_b32_e32 v2, v2, v9, vcc
	v_add_u32_e32 v9, 1, v3
	v_cmp_le_u32_e32 vcc, s36, v2
	v_cndmask_b32_e32 v2, v3, v9, vcc
	v_xor_b32_e32 v2, v2, v10
	v_sub_u32_e32 v2, v2, v10
	v_sub_u32_e32 v3, 0, v2
	v_max_i32_e32 v3, v2, v3
	v_mul_hi_u32 v9, v3, v6
	v_mul_lo_u32 v13, v2, s41
	v_ashrrev_i32_e32 v10, 31, v2
	v_xor_b32_e32 v10, s84, v10
	v_mul_lo_u32 v12, v9, s80
	v_add_u32_e32 v14, 1, v9
	v_sub_u32_e32 v3, v3, v12
	v_subrev_u32_e32 v12, s80, v3
	v_cmp_le_u32_e32 vcc, s80, v3
	v_cndmask_b32_e32 v3, v3, v12, vcc
	v_add_u32_e32 v12, s49, v11
	v_cndmask_b32_e32 v9, v9, v14, vcc
	v_sub_u32_e32 v14, v12, v13
	v_sub_u32_e32 v15, 0, v14
	v_max_i32_e32 v15, v14, v15
	v_mul_hi_u32 v16, v15, v7
	v_add_u32_e32 v17, 1, v9
	v_cmp_le_u32_e32 vcc, s80, v3
	v_cndmask_b32_e32 v3, v9, v17, vcc
	v_mul_lo_u32 v9, v16, s82
	v_xor_b32_e32 v3, v3, v10
	v_sub_u32_e32 v10, v3, v10
	v_add_u32_e32 v13, s51, v13
	v_sub_u32_e32 v3, v15, v9
	v_add_u32_e32 v9, 1, v16
	v_cmp_le_u32_e32 vcc, s82, v3
	v_subrev_u32_e32 v15, s82, v3
	v_cndmask_b32_e32 v9, v16, v9, vcc
	v_cndmask_b32_e32 v15, v3, v15, vcc
	v_ashrrev_i32_e32 v3, 31, v14
	v_add_u32_e32 v16, 1, v9
	v_cmp_le_u32_e32 vcc, s82, v15
	v_sub_u32_e32 v21, v12, v13
	v_xor_b32_e32 v3, s85, v3
	v_cndmask_b32_e32 v9, v9, v16, vcc
	v_sub_u32_e32 v16, 0, v21
	v_xor_b32_e32 v9, v9, v3
	v_max_i32_e32 v16, v21, v16
	v_sub_u32_e32 v20, v9, v3
	v_mul_hi_u32 v18, v16, v7
	v_mul_lo_u32 v15, v20, s47
	v_mul_lo_u32 v17, v10, s37
	;; [unrolled: 1-line block ×4, first 2 shown]
	v_add_u32_e32 v13, s51, v13
	v_sub_u32_e32 v14, v14, v15
	v_add_u32_e32 v15, s48, v0
	v_sub_u32_e32 v22, v12, v13
	v_sub_u32_e32 v2, v2, v17
	;; [unrolled: 1-line block ×3, first 2 shown]
	v_add_u32_e32 v11, s50, v11
	v_sub_u32_e32 v12, 0, v22
	v_cmp_eq_u32_e32 vcc, 0, v14
	v_sub_u32_e32 v14, v15, v11
	v_add_u32_e32 v11, s50, v11
	v_max_i32_e32 v23, v22, v12
	v_sub_u32_e32 v11, v15, v11
	v_sub_u32_e32 v15, v16, v19
	v_mul_hi_u32 v24, v23, v7
	v_add_u32_e32 v16, 1, v18
	v_cmp_le_u32_e64 s[2:3], s82, v15
	v_cndmask_b32_e64 v16, v18, v16, s[2:3]
	v_subrev_u32_e32 v18, s82, v15
	v_cndmask_b32_e64 v15, v15, v18, s[2:3]
	v_cmp_le_u32_e64 s[2:3], s82, v15
	v_mul_lo_u32 v15, v24, s82
	v_add_u32_e32 v18, 1, v16
	v_cndmask_b32_e64 v13, v16, v18, s[2:3]
	v_add_u32_e32 v16, 1, v24
	v_sub_u32_e32 v15, v23, v15
	v_cmp_le_u32_e64 s[2:3], s82, v15
	v_subrev_u32_e32 v18, s82, v15
	v_ashrrev_i32_e32 v12, 31, v21
	v_cndmask_b32_e64 v16, v24, v16, s[2:3]
	v_cndmask_b32_e64 v15, v15, v18, s[2:3]
	v_xor_b32_e32 v12, s85, v12
	v_add_u32_e32 v18, 1, v16
	v_cmp_le_u32_e64 s[2:3], s82, v15
	v_xor_b32_e32 v13, v13, v12
	v_cndmask_b32_e64 v16, v16, v18, s[2:3]
	v_sub_u32_e32 v18, 0, v17
	v_sub_u32_e32 v19, v13, v12
	v_ashrrev_i32_e32 v15, 31, v22
	v_max_i32_e32 v23, v17, v18
	v_mul_lo_u32 v25, v19, s47
	v_xor_b32_e32 v15, s85, v15
	v_mul_hi_u32 v24, v23, v8
	v_xor_b32_e32 v16, v16, v15
	v_sub_u32_e32 v18, v16, v15
	v_mul_lo_u32 v26, v18, s47
	v_sub_u32_e32 v21, v21, v25
	v_mul_lo_u32 v25, v24, s83
	v_cmp_eq_u32_e64 s[2:3], 0, v21
	v_sub_u32_e32 v21, v22, v26
	v_cmp_eq_u32_e64 s[4:5], 0, v21
	v_sub_u32_e32 v21, v23, v25
	v_subrev_u32_e32 v22, s83, v21
	v_cmp_le_u32_e64 s[10:11], s83, v21
	v_cndmask_b32_e64 v21, v21, v22, s[10:11]
	v_subrev_u32_e32 v22, s83, v21
	v_cmp_le_u32_e64 s[14:15], s83, v21
	v_cndmask_b32_e64 v21, v21, v22, s[14:15]
	v_ashrrev_i32_e32 v22, 31, v17
	v_xor_b32_e32 v21, v21, v22
	v_sub_u32_e32 v21, v21, v22
	v_cmp_eq_u32_e64 s[6:7], 0, v21
	v_sub_u32_e32 v21, 0, v14
	v_max_i32_e32 v21, v14, v21
	v_mul_hi_u32 v23, v21, v8
	v_cmp_lt_i32_e64 s[8:9], -1, v20
	v_cmp_gt_i32_e64 s[12:13], s43, v20
	v_add_u32_e32 v20, 1, v24
	v_mul_lo_u32 v25, v23, s83
	v_cndmask_b32_e64 v20, v24, v20, s[10:11]
	v_add_u32_e32 v24, 1, v20
	v_cndmask_b32_e64 v24, v20, v24, s[14:15]
	v_sub_u32_e32 v20, v21, v25
	v_sub_u32_e32 v25, 0, v11
	v_max_i32_e32 v25, v11, v25
	v_mul_hi_u32 v26, v25, v8
	v_subrev_u32_e32 v21, s83, v20
	v_cmp_le_u32_e64 s[10:11], s83, v20
	v_cndmask_b32_e64 v20, v20, v21, s[10:11]
	v_subrev_u32_e32 v21, s83, v20
	v_cmp_le_u32_e64 s[14:15], s83, v20
	v_cndmask_b32_e64 v27, v20, v21, s[14:15]
	v_mul_lo_u32 v21, v26, s83
	v_add_u32_e32 v20, 1, v23
	v_cndmask_b32_e64 v20, v23, v20, s[10:11]
	v_add_u32_e32 v23, 1, v20
	v_cndmask_b32_e64 v28, v20, v23, s[14:15]
	v_sub_u32_e32 v20, v25, v21
	v_subrev_u32_e32 v21, s83, v20
	v_cmp_le_u32_e64 s[10:11], s83, v20
	v_cndmask_b32_e64 v20, v20, v21, s[10:11]
	v_subrev_u32_e32 v21, s83, v20
	v_cmp_le_u32_e64 s[14:15], s83, v20
	v_cndmask_b32_e64 v25, v20, v21, s[14:15]
	v_add_u32_e32 v20, 1, v26
	v_cndmask_b32_e64 v20, v26, v20, s[10:11]
	v_add_u32_e32 v21, 1, v20
	v_cndmask_b32_e64 v26, v20, v21, s[14:15]
	v_xor_b32_e32 v20, s86, v22
	v_xor_b32_e32 v21, v24, v20
	v_sub_u32_e32 v22, v21, v20
	v_mul_lo_u32 v23, v22, s46
	v_cmp_lt_i32_e64 s[14:15], -1, v22
	v_cmp_gt_i32_e64 s[16:17], s42, v22
	v_mul_lo_u32 v10, v10, s39
	v_sub_u32_e32 v22, v17, v23
	v_ashrrev_i32_e32 v17, 31, v14
	v_xor_b32_e32 v24, s86, v17
	v_xor_b32_e32 v23, v27, v17
	;; [unrolled: 1-line block ×3, first 2 shown]
	v_sub_u32_e32 v23, v23, v17
	v_sub_u32_e32 v17, v27, v24
	v_cmp_lt_i32_e64 s[18:19], -1, v17
	v_cmp_gt_i32_e64 s[20:21], s42, v17
	v_mul_lo_u32 v17, v17, s46
	v_cmp_lt_i32_e64 s[10:11], -1, v18
	v_cmp_gt_i32_e64 s[22:23], s43, v18
	s_and_b64 s[60:61], s[14:15], s[16:17]
	v_sub_u32_e32 v28, v14, v17
	v_mad_u64_u32 v[17:18], s[24:25], v2, s38, v[10:11]
	v_ashrrev_i32_e32 v14, 31, v11
	v_xor_b32_e32 v25, v25, v14
	v_sub_u32_e32 v25, v25, v14
	v_xor_b32_e32 v14, s86, v14
	v_xor_b32_e32 v18, v26, v14
	v_mul_lo_u32 v10, s43, v17
	v_sub_u32_e32 v17, v18, v14
	v_cmp_lt_i32_e64 s[24:25], -1, v17
	v_cmp_gt_i32_e64 s[26:27], s42, v17
	v_mul_lo_u32 v17, v17, s46
	v_add_u32_e32 v16, v16, v10
	v_add_u32_e32 v13, v13, v10
	v_sub_u32_e32 v15, v16, v15
	v_sub_u32_e32 v12, v13, v12
	v_add_u32_e32 v9, v9, v10
	s_and_b64 s[62:63], s[18:19], s[20:21]
	s_and_b64 s[64:65], s[24:25], s[26:27]
	v_sub_u32_e32 v11, v11, v17
	v_mul_lo_u32 v16, s42, v15
	v_mul_lo_u32 v17, s42, v12
	v_sub_u32_e32 v3, v9, v3
	s_and_b64 s[54:55], s[12:13], s[60:61]
	s_and_b64 s[56:57], s[12:13], s[62:63]
	;; [unrolled: 1-line block ×3, first 2 shown]
	v_cmp_gt_i32_e64 s[12:13], s43, v19
	v_mul_lo_u32 v3, s42, v3
	s_and_b64 s[60:61], s[12:13], s[60:61]
	s_and_b64 s[62:63], s[12:13], s[62:63]
	;; [unrolled: 1-line block ×7, first 2 shown]
	v_cmp_eq_u32_e64 s[12:13], 0, v11
	v_add_u32_e32 v11, v18, v16
	v_add_u32_e32 v12, v18, v17
	;; [unrolled: 1-line block ×3, first 2 shown]
	v_mul_lo_u32 v2, s88, v2
	v_sub_u32_e32 v10, v11, v14
	v_sub_u32_e32 v11, v12, v14
	v_add_u32_e32 v12, v18, v3
	v_add_u32_e32 v15, v27, v17
	v_sub_u32_e32 v13, v9, v24
	v_add_u32_e32 v9, v27, v3
	s_and_b64 s[14:15], s[26:27], s[22:23]
	v_sub_u32_e32 v12, v12, v14
	v_sub_u32_e32 v14, v15, v24
	;; [unrolled: 1-line block ×3, first 2 shown]
	v_add_u32_e32 v9, v21, v16
	v_add_u32_e32 v17, v21, v17
	;; [unrolled: 1-line block ×3, first 2 shown]
	s_and_b64 s[24:25], s[14:15], s[24:25]
	v_sub_u32_e32 v16, v9, v20
	v_sub_u32_e32 v17, v17, v20
	;; [unrolled: 1-line block ×3, first 2 shown]
	v_mov_b32_e32 v9, 0
	s_and_b64 s[26:27], s[12:13], s[10:11]
	v_cmp_eq_u32_e64 s[12:13], 0, v23
	v_cmp_eq_u32_e64 s[14:15], 0, v25
	v_cmp_lt_i32_e64 s[16:17], -1, v19
	v_cmp_eq_u32_e64 s[18:19], 0, v22
	v_cmp_eq_u32_e64 s[20:21], 0, v28
	s_branch .LBB33_9
.LBB33_6:                               ;   in Loop: Header=BB33_9 Depth=2
	s_or_b64 exec, exec, s[74:75]
.LBB33_7:                               ;   in Loop: Header=BB33_9 Depth=2
	s_or_b64 exec, exec, s[72:73]
.LBB33_8:                               ;   in Loop: Header=BB33_9 Depth=2
	s_or_b64 exec, exec, s[70:71]
	s_add_i32 s91, s91, -1
	s_add_i32 s90, s90, s89
	s_cmp_eq_u32 s91, 0
	v_add_u32_e32 v2, s87, v2
	s_cbranch_scc1 .LBB33_3
.LBB33_9:                               ;   Parent Loop BB33_4 Depth=1
                                        ; =>  This Inner Loop Header: Depth=2
	s_and_saveexec_b64 s[70:71], vcc
	s_cbranch_execnz .LBB33_18
; %bb.10:                               ;   in Loop: Header=BB33_9 Depth=2
	s_or_b64 exec, exec, s[70:71]
	s_and_saveexec_b64 s[70:71], vcc
	s_cbranch_execnz .LBB33_25
.LBB33_11:                              ;   in Loop: Header=BB33_9 Depth=2
	s_or_b64 exec, exec, s[70:71]
	s_and_saveexec_b64 s[70:71], vcc
	s_cbranch_execnz .LBB33_32
.LBB33_12:                              ;   in Loop: Header=BB33_9 Depth=2
	s_or_b64 exec, exec, s[70:71]
	s_and_saveexec_b64 s[70:71], s[2:3]
	s_cbranch_execnz .LBB33_39
.LBB33_13:                              ;   in Loop: Header=BB33_9 Depth=2
	s_or_b64 exec, exec, s[70:71]
	s_and_saveexec_b64 s[70:71], s[2:3]
	s_cbranch_execnz .LBB33_46
.LBB33_14:                              ;   in Loop: Header=BB33_9 Depth=2
	s_or_b64 exec, exec, s[70:71]
	s_and_saveexec_b64 s[70:71], s[2:3]
	s_cbranch_execnz .LBB33_53
.LBB33_15:                              ;   in Loop: Header=BB33_9 Depth=2
	s_or_b64 exec, exec, s[70:71]
	s_and_saveexec_b64 s[70:71], s[4:5]
	s_cbranch_execnz .LBB33_60
.LBB33_16:                              ;   in Loop: Header=BB33_9 Depth=2
	s_or_b64 exec, exec, s[70:71]
	s_and_saveexec_b64 s[70:71], s[4:5]
	s_cbranch_execnz .LBB33_67
.LBB33_17:                              ;   in Loop: Header=BB33_9 Depth=2
	s_or_b64 exec, exec, s[70:71]
	s_and_saveexec_b64 s[70:71], s[4:5]
	s_cbranch_execz .LBB33_8
	s_branch .LBB33_74
.LBB33_18:                              ;   in Loop: Header=BB33_9 Depth=2
	s_and_saveexec_b64 s[72:73], s[6:7]
	s_cbranch_execz .LBB33_24
; %bb.19:                               ;   in Loop: Header=BB33_9 Depth=2
	s_and_saveexec_b64 s[74:75], s[8:9]
	s_cbranch_execz .LBB33_23
; %bb.20:                               ;   in Loop: Header=BB33_9 Depth=2
	;; [unrolled: 3-line block ×3, first 2 shown]
	v_ashrrev_i32_e32 v3, 31, v2
	v_lshlrev_b64 v[20:21], 2, v[2:3]
	s_waitcnt lgkmcnt(0)
	v_mov_b32_e32 v3, s53
	v_add_co_u32_e64 v20, s[22:23], s52, v20
	v_add_u32_e32 v19, s90, v18
	v_addc_co_u32_e64 v21, s[22:23], v3, v21, s[22:23]
	global_load_dword v3, v[20:21], off
	v_ashrrev_i32_e32 v20, 31, v19
	v_lshlrev_b64 v[19:20], 2, v[19:20]
	v_mov_b32_e32 v21, s31
	v_add_co_u32_e64 v19, s[22:23], s30, v19
	v_addc_co_u32_e64 v20, s[22:23], v21, v20, s[22:23]
	global_load_dword v19, v[19:20], off
	s_waitcnt vmcnt(0)
	v_fmac_f32_e32 v9, v3, v19
.LBB33_22:                              ;   in Loop: Header=BB33_9 Depth=2
	s_or_b64 exec, exec, s[76:77]
.LBB33_23:                              ;   in Loop: Header=BB33_9 Depth=2
	s_or_b64 exec, exec, s[74:75]
.LBB33_24:                              ;   in Loop: Header=BB33_9 Depth=2
	s_or_b64 exec, exec, s[72:73]
	s_or_b64 exec, exec, s[70:71]
	s_and_saveexec_b64 s[70:71], vcc
	s_cbranch_execz .LBB33_11
.LBB33_25:                              ;   in Loop: Header=BB33_9 Depth=2
	s_and_saveexec_b64 s[72:73], s[12:13]
	s_cbranch_execz .LBB33_31
; %bb.26:                               ;   in Loop: Header=BB33_9 Depth=2
	s_and_saveexec_b64 s[74:75], s[8:9]
	s_cbranch_execz .LBB33_30
; %bb.27:                               ;   in Loop: Header=BB33_9 Depth=2
	;; [unrolled: 3-line block ×3, first 2 shown]
	v_ashrrev_i32_e32 v3, 31, v2
	v_lshlrev_b64 v[20:21], 2, v[2:3]
	s_waitcnt lgkmcnt(0)
	v_mov_b32_e32 v3, s53
	v_add_co_u32_e64 v20, s[22:23], s52, v20
	v_add_u32_e32 v19, s90, v15
	v_addc_co_u32_e64 v21, s[22:23], v3, v21, s[22:23]
	global_load_dword v3, v[20:21], off offset:4
	v_ashrrev_i32_e32 v20, 31, v19
	v_lshlrev_b64 v[19:20], 2, v[19:20]
	v_mov_b32_e32 v21, s31
	v_add_co_u32_e64 v19, s[22:23], s30, v19
	v_addc_co_u32_e64 v20, s[22:23], v21, v20, s[22:23]
	global_load_dword v19, v[19:20], off
	s_waitcnt vmcnt(0)
	v_fmac_f32_e32 v9, v3, v19
.LBB33_29:                              ;   in Loop: Header=BB33_9 Depth=2
	s_or_b64 exec, exec, s[76:77]
.LBB33_30:                              ;   in Loop: Header=BB33_9 Depth=2
	s_or_b64 exec, exec, s[74:75]
.LBB33_31:                              ;   in Loop: Header=BB33_9 Depth=2
	s_or_b64 exec, exec, s[72:73]
	s_or_b64 exec, exec, s[70:71]
	s_and_saveexec_b64 s[70:71], vcc
	s_cbranch_execz .LBB33_12
.LBB33_32:                              ;   in Loop: Header=BB33_9 Depth=2
	s_and_saveexec_b64 s[72:73], s[14:15]
	s_cbranch_execz .LBB33_38
; %bb.33:                               ;   in Loop: Header=BB33_9 Depth=2
	s_and_saveexec_b64 s[74:75], s[8:9]
	s_cbranch_execz .LBB33_37
; %bb.34:                               ;   in Loop: Header=BB33_9 Depth=2
	;; [unrolled: 3-line block ×3, first 2 shown]
	v_ashrrev_i32_e32 v3, 31, v2
	v_lshlrev_b64 v[20:21], 2, v[2:3]
	s_waitcnt lgkmcnt(0)
	v_mov_b32_e32 v3, s53
	v_add_co_u32_e64 v20, s[22:23], s52, v20
	v_add_u32_e32 v19, s90, v12
	v_addc_co_u32_e64 v21, s[22:23], v3, v21, s[22:23]
	global_load_dword v3, v[20:21], off offset:8
	v_ashrrev_i32_e32 v20, 31, v19
	v_lshlrev_b64 v[19:20], 2, v[19:20]
	v_mov_b32_e32 v21, s31
	v_add_co_u32_e64 v19, s[22:23], s30, v19
	v_addc_co_u32_e64 v20, s[22:23], v21, v20, s[22:23]
	global_load_dword v19, v[19:20], off
	s_waitcnt vmcnt(0)
	v_fmac_f32_e32 v9, v3, v19
.LBB33_36:                              ;   in Loop: Header=BB33_9 Depth=2
	s_or_b64 exec, exec, s[76:77]
.LBB33_37:                              ;   in Loop: Header=BB33_9 Depth=2
	s_or_b64 exec, exec, s[74:75]
.LBB33_38:                              ;   in Loop: Header=BB33_9 Depth=2
	s_or_b64 exec, exec, s[72:73]
	s_or_b64 exec, exec, s[70:71]
	s_and_saveexec_b64 s[70:71], s[2:3]
	s_cbranch_execz .LBB33_13
.LBB33_39:                              ;   in Loop: Header=BB33_9 Depth=2
	s_and_saveexec_b64 s[72:73], s[6:7]
	s_cbranch_execz .LBB33_45
; %bb.40:                               ;   in Loop: Header=BB33_9 Depth=2
	s_and_saveexec_b64 s[74:75], s[16:17]
	s_cbranch_execz .LBB33_44
; %bb.41:                               ;   in Loop: Header=BB33_9 Depth=2
	;; [unrolled: 3-line block ×3, first 2 shown]
	v_ashrrev_i32_e32 v3, 31, v2
	v_lshlrev_b64 v[20:21], 2, v[2:3]
	s_waitcnt lgkmcnt(0)
	v_mov_b32_e32 v3, s53
	v_add_co_u32_e64 v20, s[22:23], s52, v20
	v_add_u32_e32 v19, s90, v17
	v_addc_co_u32_e64 v21, s[22:23], v3, v21, s[22:23]
	global_load_dword v3, v[20:21], off offset:12
	v_ashrrev_i32_e32 v20, 31, v19
	v_lshlrev_b64 v[19:20], 2, v[19:20]
	v_mov_b32_e32 v21, s31
	v_add_co_u32_e64 v19, s[22:23], s30, v19
	v_addc_co_u32_e64 v20, s[22:23], v21, v20, s[22:23]
	global_load_dword v19, v[19:20], off
	s_waitcnt vmcnt(0)
	v_fmac_f32_e32 v9, v3, v19
.LBB33_43:                              ;   in Loop: Header=BB33_9 Depth=2
	s_or_b64 exec, exec, s[76:77]
.LBB33_44:                              ;   in Loop: Header=BB33_9 Depth=2
	s_or_b64 exec, exec, s[74:75]
.LBB33_45:                              ;   in Loop: Header=BB33_9 Depth=2
	s_or_b64 exec, exec, s[72:73]
	s_or_b64 exec, exec, s[70:71]
	s_and_saveexec_b64 s[70:71], s[2:3]
	s_cbranch_execz .LBB33_14
.LBB33_46:                              ;   in Loop: Header=BB33_9 Depth=2
	s_and_saveexec_b64 s[72:73], s[12:13]
	s_cbranch_execz .LBB33_52
; %bb.47:                               ;   in Loop: Header=BB33_9 Depth=2
	s_and_saveexec_b64 s[74:75], s[16:17]
	s_cbranch_execz .LBB33_51
; %bb.48:                               ;   in Loop: Header=BB33_9 Depth=2
	;; [unrolled: 3-line block ×3, first 2 shown]
	v_ashrrev_i32_e32 v3, 31, v2
	v_lshlrev_b64 v[20:21], 2, v[2:3]
	s_waitcnt lgkmcnt(0)
	v_mov_b32_e32 v3, s53
	v_add_co_u32_e64 v20, s[22:23], s52, v20
	v_add_u32_e32 v19, s90, v14
	v_addc_co_u32_e64 v21, s[22:23], v3, v21, s[22:23]
	global_load_dword v3, v[20:21], off offset:16
	v_ashrrev_i32_e32 v20, 31, v19
	v_lshlrev_b64 v[19:20], 2, v[19:20]
	v_mov_b32_e32 v21, s31
	v_add_co_u32_e64 v19, s[22:23], s30, v19
	v_addc_co_u32_e64 v20, s[22:23], v21, v20, s[22:23]
	global_load_dword v19, v[19:20], off
	s_waitcnt vmcnt(0)
	v_fmac_f32_e32 v9, v3, v19
.LBB33_50:                              ;   in Loop: Header=BB33_9 Depth=2
	s_or_b64 exec, exec, s[76:77]
.LBB33_51:                              ;   in Loop: Header=BB33_9 Depth=2
	s_or_b64 exec, exec, s[74:75]
.LBB33_52:                              ;   in Loop: Header=BB33_9 Depth=2
	s_or_b64 exec, exec, s[72:73]
	s_or_b64 exec, exec, s[70:71]
	s_and_saveexec_b64 s[70:71], s[2:3]
	s_cbranch_execz .LBB33_15
.LBB33_53:                              ;   in Loop: Header=BB33_9 Depth=2
	s_and_saveexec_b64 s[72:73], s[14:15]
	s_cbranch_execz .LBB33_59
; %bb.54:                               ;   in Loop: Header=BB33_9 Depth=2
	s_and_saveexec_b64 s[74:75], s[16:17]
	s_cbranch_execz .LBB33_58
; %bb.55:                               ;   in Loop: Header=BB33_9 Depth=2
	;; [unrolled: 3-line block ×3, first 2 shown]
	v_ashrrev_i32_e32 v3, 31, v2
	v_lshlrev_b64 v[20:21], 2, v[2:3]
	s_waitcnt lgkmcnt(0)
	v_mov_b32_e32 v3, s53
	v_add_co_u32_e64 v20, s[22:23], s52, v20
	v_add_u32_e32 v19, s90, v11
	v_addc_co_u32_e64 v21, s[22:23], v3, v21, s[22:23]
	global_load_dword v3, v[20:21], off offset:20
	v_ashrrev_i32_e32 v20, 31, v19
	v_lshlrev_b64 v[19:20], 2, v[19:20]
	v_mov_b32_e32 v21, s31
	v_add_co_u32_e64 v19, s[22:23], s30, v19
	v_addc_co_u32_e64 v20, s[22:23], v21, v20, s[22:23]
	global_load_dword v19, v[19:20], off
	s_waitcnt vmcnt(0)
	v_fmac_f32_e32 v9, v3, v19
.LBB33_57:                              ;   in Loop: Header=BB33_9 Depth=2
	s_or_b64 exec, exec, s[76:77]
.LBB33_58:                              ;   in Loop: Header=BB33_9 Depth=2
	s_or_b64 exec, exec, s[74:75]
.LBB33_59:                              ;   in Loop: Header=BB33_9 Depth=2
	s_or_b64 exec, exec, s[72:73]
	s_or_b64 exec, exec, s[70:71]
	s_and_saveexec_b64 s[70:71], s[4:5]
	s_cbranch_execz .LBB33_16
.LBB33_60:                              ;   in Loop: Header=BB33_9 Depth=2
	s_and_saveexec_b64 s[72:73], s[18:19]
	s_cbranch_execz .LBB33_66
; %bb.61:                               ;   in Loop: Header=BB33_9 Depth=2
	s_and_saveexec_b64 s[74:75], s[10:11]
	s_cbranch_execz .LBB33_65
; %bb.62:                               ;   in Loop: Header=BB33_9 Depth=2
	;; [unrolled: 3-line block ×3, first 2 shown]
	v_ashrrev_i32_e32 v3, 31, v2
	v_lshlrev_b64 v[20:21], 2, v[2:3]
	s_waitcnt lgkmcnt(0)
	v_mov_b32_e32 v3, s53
	v_add_co_u32_e64 v20, s[22:23], s52, v20
	v_add_u32_e32 v19, s90, v16
	v_addc_co_u32_e64 v21, s[22:23], v3, v21, s[22:23]
	global_load_dword v3, v[20:21], off offset:24
	v_ashrrev_i32_e32 v20, 31, v19
	v_lshlrev_b64 v[19:20], 2, v[19:20]
	v_mov_b32_e32 v21, s31
	v_add_co_u32_e64 v19, s[22:23], s30, v19
	v_addc_co_u32_e64 v20, s[22:23], v21, v20, s[22:23]
	global_load_dword v19, v[19:20], off
	s_waitcnt vmcnt(0)
	v_fmac_f32_e32 v9, v3, v19
.LBB33_64:                              ;   in Loop: Header=BB33_9 Depth=2
	s_or_b64 exec, exec, s[76:77]
.LBB33_65:                              ;   in Loop: Header=BB33_9 Depth=2
	s_or_b64 exec, exec, s[74:75]
.LBB33_66:                              ;   in Loop: Header=BB33_9 Depth=2
	s_or_b64 exec, exec, s[72:73]
	s_or_b64 exec, exec, s[70:71]
	s_and_saveexec_b64 s[70:71], s[4:5]
	s_cbranch_execz .LBB33_17
.LBB33_67:                              ;   in Loop: Header=BB33_9 Depth=2
	s_and_saveexec_b64 s[72:73], s[20:21]
	s_cbranch_execz .LBB33_73
; %bb.68:                               ;   in Loop: Header=BB33_9 Depth=2
	s_and_saveexec_b64 s[74:75], s[10:11]
	s_cbranch_execz .LBB33_72
; %bb.69:                               ;   in Loop: Header=BB33_9 Depth=2
	;; [unrolled: 3-line block ×3, first 2 shown]
	v_ashrrev_i32_e32 v3, 31, v2
	v_lshlrev_b64 v[20:21], 2, v[2:3]
	s_waitcnt lgkmcnt(0)
	v_mov_b32_e32 v3, s53
	v_add_co_u32_e64 v20, s[22:23], s52, v20
	v_add_u32_e32 v19, s90, v13
	v_addc_co_u32_e64 v21, s[22:23], v3, v21, s[22:23]
	global_load_dword v3, v[20:21], off offset:28
	v_ashrrev_i32_e32 v20, 31, v19
	v_lshlrev_b64 v[19:20], 2, v[19:20]
	v_mov_b32_e32 v21, s31
	v_add_co_u32_e64 v19, s[22:23], s30, v19
	v_addc_co_u32_e64 v20, s[22:23], v21, v20, s[22:23]
	global_load_dword v19, v[19:20], off
	s_waitcnt vmcnt(0)
	v_fmac_f32_e32 v9, v3, v19
.LBB33_71:                              ;   in Loop: Header=BB33_9 Depth=2
	s_or_b64 exec, exec, s[76:77]
.LBB33_72:                              ;   in Loop: Header=BB33_9 Depth=2
	s_or_b64 exec, exec, s[74:75]
.LBB33_73:                              ;   in Loop: Header=BB33_9 Depth=2
	s_or_b64 exec, exec, s[72:73]
	s_or_b64 exec, exec, s[70:71]
	s_and_saveexec_b64 s[70:71], s[4:5]
	s_cbranch_execz .LBB33_8
.LBB33_74:                              ;   in Loop: Header=BB33_9 Depth=2
	s_and_saveexec_b64 s[72:73], s[26:27]
	s_cbranch_execz .LBB33_7
; %bb.75:                               ;   in Loop: Header=BB33_9 Depth=2
	s_and_saveexec_b64 s[74:75], s[24:25]
	s_cbranch_execz .LBB33_6
; %bb.76:                               ;   in Loop: Header=BB33_9 Depth=2
	v_ashrrev_i32_e32 v3, 31, v2
	v_lshlrev_b64 v[20:21], 2, v[2:3]
	s_waitcnt lgkmcnt(0)
	v_mov_b32_e32 v3, s53
	v_add_co_u32_e64 v20, s[22:23], s52, v20
	v_add_u32_e32 v19, s90, v10
	v_addc_co_u32_e64 v21, s[22:23], v3, v21, s[22:23]
	global_load_dword v3, v[20:21], off offset:32
	v_ashrrev_i32_e32 v20, 31, v19
	v_lshlrev_b64 v[19:20], 2, v[19:20]
	v_mov_b32_e32 v21, s31
	v_add_co_u32_e64 v19, s[22:23], s30, v19
	v_addc_co_u32_e64 v20, s[22:23], v21, v20, s[22:23]
	global_load_dword v19, v[19:20], off
	s_waitcnt vmcnt(0)
	v_fmac_f32_e32 v9, v3, v19
	s_branch .LBB33_6
.LBB33_77:
	s_endpgm
	.section	.rodata,"a",@progbits
	.p2align	6, 0x0
	.amdhsa_kernel _ZN2at6native12_GLOBAL__N_132conv_depthwise2d_backward_kernelILi3ELi0EfiEEvN5torch10headeronly6detail27GenericPackedTensorAccessorINS5_14TensorAccessorIN3c108ArrayRefIlEEKT1_Lm3ENS4_16DefaultPtrTraitsEiEENS_6detail16IndexBoundsCheckILm4EiEESC_Lm4ESD_iEENS6_INS7_ISA_SB_Lm3ESD_iEESH_SB_Lm4ESD_iEESI_T2_iiiiiiiiiiiiiii
		.amdhsa_group_segment_fixed_size 0
		.amdhsa_private_segment_fixed_size 0
		.amdhsa_kernarg_size 440
		.amdhsa_user_sgpr_count 6
		.amdhsa_user_sgpr_private_segment_buffer 1
		.amdhsa_user_sgpr_dispatch_ptr 0
		.amdhsa_user_sgpr_queue_ptr 0
		.amdhsa_user_sgpr_kernarg_segment_ptr 1
		.amdhsa_user_sgpr_dispatch_id 0
		.amdhsa_user_sgpr_flat_scratch_init 0
		.amdhsa_user_sgpr_private_segment_size 0
		.amdhsa_uses_dynamic_stack 0
		.amdhsa_system_sgpr_private_segment_wavefront_offset 0
		.amdhsa_system_sgpr_workgroup_id_x 1
		.amdhsa_system_sgpr_workgroup_id_y 0
		.amdhsa_system_sgpr_workgroup_id_z 0
		.amdhsa_system_sgpr_workgroup_info 0
		.amdhsa_system_vgpr_workitem_id 0
		.amdhsa_next_free_vgpr 29
		.amdhsa_next_free_sgpr 92
		.amdhsa_reserve_vcc 1
		.amdhsa_reserve_flat_scratch 0
		.amdhsa_float_round_mode_32 0
		.amdhsa_float_round_mode_16_64 0
		.amdhsa_float_denorm_mode_32 3
		.amdhsa_float_denorm_mode_16_64 3
		.amdhsa_dx10_clamp 1
		.amdhsa_ieee_mode 1
		.amdhsa_fp16_overflow 0
		.amdhsa_exception_fp_ieee_invalid_op 0
		.amdhsa_exception_fp_denorm_src 0
		.amdhsa_exception_fp_ieee_div_zero 0
		.amdhsa_exception_fp_ieee_overflow 0
		.amdhsa_exception_fp_ieee_underflow 0
		.amdhsa_exception_fp_ieee_inexact 0
		.amdhsa_exception_int_div_zero 0
	.end_amdhsa_kernel
	.section	.text._ZN2at6native12_GLOBAL__N_132conv_depthwise2d_backward_kernelILi3ELi0EfiEEvN5torch10headeronly6detail27GenericPackedTensorAccessorINS5_14TensorAccessorIN3c108ArrayRefIlEEKT1_Lm3ENS4_16DefaultPtrTraitsEiEENS_6detail16IndexBoundsCheckILm4EiEESC_Lm4ESD_iEENS6_INS7_ISA_SB_Lm3ESD_iEESH_SB_Lm4ESD_iEESI_T2_iiiiiiiiiiiiiii,"axG",@progbits,_ZN2at6native12_GLOBAL__N_132conv_depthwise2d_backward_kernelILi3ELi0EfiEEvN5torch10headeronly6detail27GenericPackedTensorAccessorINS5_14TensorAccessorIN3c108ArrayRefIlEEKT1_Lm3ENS4_16DefaultPtrTraitsEiEENS_6detail16IndexBoundsCheckILm4EiEESC_Lm4ESD_iEENS6_INS7_ISA_SB_Lm3ESD_iEESH_SB_Lm4ESD_iEESI_T2_iiiiiiiiiiiiiii,comdat
.Lfunc_end33:
	.size	_ZN2at6native12_GLOBAL__N_132conv_depthwise2d_backward_kernelILi3ELi0EfiEEvN5torch10headeronly6detail27GenericPackedTensorAccessorINS5_14TensorAccessorIN3c108ArrayRefIlEEKT1_Lm3ENS4_16DefaultPtrTraitsEiEENS_6detail16IndexBoundsCheckILm4EiEESC_Lm4ESD_iEENS6_INS7_ISA_SB_Lm3ESD_iEESH_SB_Lm4ESD_iEESI_T2_iiiiiiiiiiiiiii, .Lfunc_end33-_ZN2at6native12_GLOBAL__N_132conv_depthwise2d_backward_kernelILi3ELi0EfiEEvN5torch10headeronly6detail27GenericPackedTensorAccessorINS5_14TensorAccessorIN3c108ArrayRefIlEEKT1_Lm3ENS4_16DefaultPtrTraitsEiEENS_6detail16IndexBoundsCheckILm4EiEESC_Lm4ESD_iEENS6_INS7_ISA_SB_Lm3ESD_iEESH_SB_Lm4ESD_iEESI_T2_iiiiiiiiiiiiiii
                                        ; -- End function
	.set _ZN2at6native12_GLOBAL__N_132conv_depthwise2d_backward_kernelILi3ELi0EfiEEvN5torch10headeronly6detail27GenericPackedTensorAccessorINS5_14TensorAccessorIN3c108ArrayRefIlEEKT1_Lm3ENS4_16DefaultPtrTraitsEiEENS_6detail16IndexBoundsCheckILm4EiEESC_Lm4ESD_iEENS6_INS7_ISA_SB_Lm3ESD_iEESH_SB_Lm4ESD_iEESI_T2_iiiiiiiiiiiiiii.num_vgpr, 29
	.set _ZN2at6native12_GLOBAL__N_132conv_depthwise2d_backward_kernelILi3ELi0EfiEEvN5torch10headeronly6detail27GenericPackedTensorAccessorINS5_14TensorAccessorIN3c108ArrayRefIlEEKT1_Lm3ENS4_16DefaultPtrTraitsEiEENS_6detail16IndexBoundsCheckILm4EiEESC_Lm4ESD_iEENS6_INS7_ISA_SB_Lm3ESD_iEESH_SB_Lm4ESD_iEESI_T2_iiiiiiiiiiiiiii.num_agpr, 0
	.set _ZN2at6native12_GLOBAL__N_132conv_depthwise2d_backward_kernelILi3ELi0EfiEEvN5torch10headeronly6detail27GenericPackedTensorAccessorINS5_14TensorAccessorIN3c108ArrayRefIlEEKT1_Lm3ENS4_16DefaultPtrTraitsEiEENS_6detail16IndexBoundsCheckILm4EiEESC_Lm4ESD_iEENS6_INS7_ISA_SB_Lm3ESD_iEESH_SB_Lm4ESD_iEESI_T2_iiiiiiiiiiiiiii.numbered_sgpr, 92
	.set _ZN2at6native12_GLOBAL__N_132conv_depthwise2d_backward_kernelILi3ELi0EfiEEvN5torch10headeronly6detail27GenericPackedTensorAccessorINS5_14TensorAccessorIN3c108ArrayRefIlEEKT1_Lm3ENS4_16DefaultPtrTraitsEiEENS_6detail16IndexBoundsCheckILm4EiEESC_Lm4ESD_iEENS6_INS7_ISA_SB_Lm3ESD_iEESH_SB_Lm4ESD_iEESI_T2_iiiiiiiiiiiiiii.num_named_barrier, 0
	.set _ZN2at6native12_GLOBAL__N_132conv_depthwise2d_backward_kernelILi3ELi0EfiEEvN5torch10headeronly6detail27GenericPackedTensorAccessorINS5_14TensorAccessorIN3c108ArrayRefIlEEKT1_Lm3ENS4_16DefaultPtrTraitsEiEENS_6detail16IndexBoundsCheckILm4EiEESC_Lm4ESD_iEENS6_INS7_ISA_SB_Lm3ESD_iEESH_SB_Lm4ESD_iEESI_T2_iiiiiiiiiiiiiii.private_seg_size, 0
	.set _ZN2at6native12_GLOBAL__N_132conv_depthwise2d_backward_kernelILi3ELi0EfiEEvN5torch10headeronly6detail27GenericPackedTensorAccessorINS5_14TensorAccessorIN3c108ArrayRefIlEEKT1_Lm3ENS4_16DefaultPtrTraitsEiEENS_6detail16IndexBoundsCheckILm4EiEESC_Lm4ESD_iEENS6_INS7_ISA_SB_Lm3ESD_iEESH_SB_Lm4ESD_iEESI_T2_iiiiiiiiiiiiiii.uses_vcc, 1
	.set _ZN2at6native12_GLOBAL__N_132conv_depthwise2d_backward_kernelILi3ELi0EfiEEvN5torch10headeronly6detail27GenericPackedTensorAccessorINS5_14TensorAccessorIN3c108ArrayRefIlEEKT1_Lm3ENS4_16DefaultPtrTraitsEiEENS_6detail16IndexBoundsCheckILm4EiEESC_Lm4ESD_iEENS6_INS7_ISA_SB_Lm3ESD_iEESH_SB_Lm4ESD_iEESI_T2_iiiiiiiiiiiiiii.uses_flat_scratch, 0
	.set _ZN2at6native12_GLOBAL__N_132conv_depthwise2d_backward_kernelILi3ELi0EfiEEvN5torch10headeronly6detail27GenericPackedTensorAccessorINS5_14TensorAccessorIN3c108ArrayRefIlEEKT1_Lm3ENS4_16DefaultPtrTraitsEiEENS_6detail16IndexBoundsCheckILm4EiEESC_Lm4ESD_iEENS6_INS7_ISA_SB_Lm3ESD_iEESH_SB_Lm4ESD_iEESI_T2_iiiiiiiiiiiiiii.has_dyn_sized_stack, 0
	.set _ZN2at6native12_GLOBAL__N_132conv_depthwise2d_backward_kernelILi3ELi0EfiEEvN5torch10headeronly6detail27GenericPackedTensorAccessorINS5_14TensorAccessorIN3c108ArrayRefIlEEKT1_Lm3ENS4_16DefaultPtrTraitsEiEENS_6detail16IndexBoundsCheckILm4EiEESC_Lm4ESD_iEENS6_INS7_ISA_SB_Lm3ESD_iEESH_SB_Lm4ESD_iEESI_T2_iiiiiiiiiiiiiii.has_recursion, 0
	.set _ZN2at6native12_GLOBAL__N_132conv_depthwise2d_backward_kernelILi3ELi0EfiEEvN5torch10headeronly6detail27GenericPackedTensorAccessorINS5_14TensorAccessorIN3c108ArrayRefIlEEKT1_Lm3ENS4_16DefaultPtrTraitsEiEENS_6detail16IndexBoundsCheckILm4EiEESC_Lm4ESD_iEENS6_INS7_ISA_SB_Lm3ESD_iEESH_SB_Lm4ESD_iEESI_T2_iiiiiiiiiiiiiii.has_indirect_call, 0
	.section	.AMDGPU.csdata,"",@progbits
; Kernel info:
; codeLenInByte = 3296
; TotalNumSgprs: 96
; NumVgprs: 29
; ScratchSize: 0
; MemoryBound: 0
; FloatMode: 240
; IeeeMode: 1
; LDSByteSize: 0 bytes/workgroup (compile time only)
; SGPRBlocks: 11
; VGPRBlocks: 7
; NumSGPRsForWavesPerEU: 96
; NumVGPRsForWavesPerEU: 29
; Occupancy: 8
; WaveLimiterHint : 0
; COMPUTE_PGM_RSRC2:SCRATCH_EN: 0
; COMPUTE_PGM_RSRC2:USER_SGPR: 6
; COMPUTE_PGM_RSRC2:TRAP_HANDLER: 0
; COMPUTE_PGM_RSRC2:TGID_X_EN: 1
; COMPUTE_PGM_RSRC2:TGID_Y_EN: 0
; COMPUTE_PGM_RSRC2:TGID_Z_EN: 0
; COMPUTE_PGM_RSRC2:TIDIG_COMP_CNT: 0
	.section	.text._ZN2at6native12_GLOBAL__N_132conv_depthwise2d_backward_kernelILi1ELi1EfiEEvN5torch10headeronly6detail27GenericPackedTensorAccessorINS5_14TensorAccessorIN3c108ArrayRefIlEEKT1_Lm3ENS4_16DefaultPtrTraitsEiEENS_6detail16IndexBoundsCheckILm4EiEESC_Lm4ESD_iEENS6_INS7_ISA_SB_Lm3ESD_iEESH_SB_Lm4ESD_iEESI_T2_iiiiiiiiiiiiiii,"axG",@progbits,_ZN2at6native12_GLOBAL__N_132conv_depthwise2d_backward_kernelILi1ELi1EfiEEvN5torch10headeronly6detail27GenericPackedTensorAccessorINS5_14TensorAccessorIN3c108ArrayRefIlEEKT1_Lm3ENS4_16DefaultPtrTraitsEiEENS_6detail16IndexBoundsCheckILm4EiEESC_Lm4ESD_iEENS6_INS7_ISA_SB_Lm3ESD_iEESH_SB_Lm4ESD_iEESI_T2_iiiiiiiiiiiiiii,comdat
	.globl	_ZN2at6native12_GLOBAL__N_132conv_depthwise2d_backward_kernelILi1ELi1EfiEEvN5torch10headeronly6detail27GenericPackedTensorAccessorINS5_14TensorAccessorIN3c108ArrayRefIlEEKT1_Lm3ENS4_16DefaultPtrTraitsEiEENS_6detail16IndexBoundsCheckILm4EiEESC_Lm4ESD_iEENS6_INS7_ISA_SB_Lm3ESD_iEESH_SB_Lm4ESD_iEESI_T2_iiiiiiiiiiiiiii ; -- Begin function _ZN2at6native12_GLOBAL__N_132conv_depthwise2d_backward_kernelILi1ELi1EfiEEvN5torch10headeronly6detail27GenericPackedTensorAccessorINS5_14TensorAccessorIN3c108ArrayRefIlEEKT1_Lm3ENS4_16DefaultPtrTraitsEiEENS_6detail16IndexBoundsCheckILm4EiEESC_Lm4ESD_iEENS6_INS7_ISA_SB_Lm3ESD_iEESH_SB_Lm4ESD_iEESI_T2_iiiiiiiiiiiiiii
	.p2align	8
	.type	_ZN2at6native12_GLOBAL__N_132conv_depthwise2d_backward_kernelILi1ELi1EfiEEvN5torch10headeronly6detail27GenericPackedTensorAccessorINS5_14TensorAccessorIN3c108ArrayRefIlEEKT1_Lm3ENS4_16DefaultPtrTraitsEiEENS_6detail16IndexBoundsCheckILm4EiEESC_Lm4ESD_iEENS6_INS7_ISA_SB_Lm3ESD_iEESH_SB_Lm4ESD_iEESI_T2_iiiiiiiiiiiiiii,@function
_ZN2at6native12_GLOBAL__N_132conv_depthwise2d_backward_kernelILi1ELi1EfiEEvN5torch10headeronly6detail27GenericPackedTensorAccessorINS5_14TensorAccessorIN3c108ArrayRefIlEEKT1_Lm3ENS4_16DefaultPtrTraitsEiEENS_6detail16IndexBoundsCheckILm4EiEESC_Lm4ESD_iEENS6_INS7_ISA_SB_Lm3ESD_iEESH_SB_Lm4ESD_iEESI_T2_iiiiiiiiiiiiiii: ; @_ZN2at6native12_GLOBAL__N_132conv_depthwise2d_backward_kernelILi1ELi1EfiEEvN5torch10headeronly6detail27GenericPackedTensorAccessorINS5_14TensorAccessorIN3c108ArrayRefIlEEKT1_Lm3ENS4_16DefaultPtrTraitsEiEENS_6detail16IndexBoundsCheckILm4EiEESC_Lm4ESD_iEENS6_INS7_ISA_SB_Lm3ESD_iEESH_SB_Lm4ESD_iEESI_T2_iiiiiiiiiiiiiii
; %bb.0:
	s_load_dword s2, s[4:5], 0xc4
	s_load_dwordx8 s[8:15], s[4:5], 0x78
	s_add_u32 s0, s4, 0xb8
	s_addc_u32 s1, s5, 0
	v_mov_b32_e32 v1, 0
	s_waitcnt lgkmcnt(0)
	s_and_b32 s2, s2, 0xffff
	v_mov_b32_e32 v2, s6
	v_mad_u64_u32 v[1:2], s[16:17], s2, v2, v[0:1]
	s_ashr_i32 s17, s8, 31
	s_mov_b32 s16, s8
	v_cmp_gt_i64_e32 vcc, s[16:17], v[1:2]
	s_and_saveexec_b64 s[18:19], vcc
	s_cbranch_execz .LBB34_9
; %bb.1:
	s_cmp_gt_i32 s10, 0
	s_cselect_b64 s[38:39], -1, 0
	s_abs_i32 s8, s12
	v_cvt_f32_u32_e32 v3, s8
	s_abs_i32 s28, s13
	v_cvt_f32_u32_e32 v4, s28
	s_abs_i32 s29, s9
	v_rcp_iflag_f32_e32 v3, v3
	v_cvt_f32_u32_e32 v5, s29
	v_rcp_iflag_f32_e32 v4, v4
	s_load_dwordx2 s[26:27], s[4:5], 0x98
	s_load_dwordx2 s[20:21], s[4:5], 0x0
	;; [unrolled: 1-line block ×4, first 2 shown]
	s_load_dword s3, s[0:1], 0x0
	v_mul_f32_e32 v3, 0x4f7ffffe, v3
	v_rcp_iflag_f32_e32 v5, v5
	v_cvt_u32_f32_e32 v3, v3
	v_mul_f32_e32 v4, 0x4f7ffffe, v4
	s_sub_i32 s0, 0, s8
	v_cvt_u32_f32_e32 v4, v4
	v_mul_f32_e32 v5, 0x4f7ffffe, v5
	v_mul_lo_u32 v6, s0, v3
	v_cvt_u32_f32_e32 v5, v5
	s_sub_i32 s0, 0, s28
	v_mul_lo_u32 v7, s0, v4
	s_sub_i32 s0, 0, s29
	v_mul_hi_u32 v6, v3, v6
	v_mul_lo_u32 v8, s0, v5
	s_load_dwordx2 s[18:19], s[4:5], 0xa8
	v_mul_hi_u32 v9, v4, v7
	v_add_u32_e32 v7, v3, v6
	v_mul_hi_u32 v3, v5, v8
	s_mul_i32 s0, s6, s2
	v_add_u32_e32 v8, v4, v9
	s_waitcnt lgkmcnt(0)
	s_mul_i32 s35, s27, s26
	v_add_u32_e32 v9, v5, v3
	s_add_i32 s0, s0, s18
	v_cndmask_b32_e64 v3, 0, 1, s[38:39]
	s_mul_i32 s30, s3, s2
	s_ashr_i32 s31, s12, 31
	s_ashr_i32 s33, s13, 31
	;; [unrolled: 1-line block ×3, first 2 shown]
	s_mul_i32 s36, s35, s10
	v_add_u32_e32 v0, s0, v0
	s_mul_i32 s37, s15, s14
	s_mov_b64 s[26:27], 0
	v_cmp_ne_u32_e64 s[0:1], 1, v3
	s_branch .LBB34_4
.LBB34_2:                               ;   in Loop: Header=BB34_4 Depth=1
	v_mov_b32_e32 v10, 0
.LBB34_3:                               ;   in Loop: Header=BB34_4 Depth=1
	v_lshlrev_b64 v[3:4], 2, v[1:2]
	v_mov_b32_e32 v5, s23
	v_add_co_u32_e32 v3, vcc, s22, v3
	v_addc_co_u32_e32 v4, vcc, v5, v4, vcc
	v_add_co_u32_e32 v1, vcc, s30, v1
	v_addc_co_u32_e32 v2, vcc, 0, v2, vcc
	v_cmp_le_i64_e32 vcc, s[16:17], v[1:2]
	v_add_u32_e32 v0, s30, v0
	s_or_b64 s[26:27], vcc, s[26:27]
	global_store_dword v[3:4], v10, off
	s_andn2_b64 exec, exec, s[26:27]
	s_cbranch_execz .LBB34_9
.LBB34_4:                               ; =>This Loop Header: Depth=1
                                        ;     Child Loop BB34_7 Depth 2
	s_and_b64 vcc, exec, s[0:1]
	s_cbranch_vccnz .LBB34_2
; %bb.5:                                ;   in Loop: Header=BB34_4 Depth=1
	v_sub_u32_e32 v3, 0, v1
	v_max_i32_e32 v3, v1, v3
	v_mul_hi_u32 v4, v3, v7
	v_ashrrev_i32_e32 v6, 31, v1
	v_xor_b32_e32 v6, s31, v6
	v_mul_lo_u32 v5, v4, s8
	v_add_u32_e32 v10, 1, v4
	v_sub_u32_e32 v3, v3, v5
	v_cmp_le_u32_e32 vcc, s8, v3
	v_subrev_u32_e32 v5, s8, v3
	v_cndmask_b32_e32 v4, v4, v10, vcc
	v_cndmask_b32_e32 v3, v3, v5, vcc
	v_add_u32_e32 v5, 1, v4
	v_cmp_le_u32_e32 vcc, s8, v3
	v_cndmask_b32_e32 v3, v4, v5, vcc
	v_xor_b32_e32 v5, v3, v6
	v_sub_u32_e32 v3, v5, v6
	v_sub_u32_e32 v4, 0, v3
	v_max_i32_e32 v4, v3, v4
	v_mul_hi_u32 v10, v4, v8
	v_ashrrev_i32_e32 v12, 31, v3
	v_xor_b32_e32 v12, s33, v12
	v_mul_lo_u32 v11, v10, s28
	v_add_u32_e32 v13, 1, v10
	v_sub_u32_e32 v4, v4, v11
	v_cmp_le_u32_e32 vcc, s28, v4
	v_subrev_u32_e32 v11, s28, v4
	v_cndmask_b32_e32 v10, v10, v13, vcc
	v_cndmask_b32_e32 v4, v4, v11, vcc
	v_add_u32_e32 v11, 1, v10
	v_cmp_le_u32_e32 vcc, s28, v4
	v_cndmask_b32_e32 v4, v10, v11, vcc
	v_xor_b32_e32 v4, v4, v12
	v_sub_u32_e32 v4, v4, v12
	;; [unrolled: 17-line block ×3, first 2 shown]
	v_mul_lo_u32 v11, v10, s9
	v_mul_lo_u32 v12, v4, s13
	;; [unrolled: 1-line block ×3, first 2 shown]
	v_sub_u32_e32 v11, v4, v11
	v_sub_u32_e32 v4, v3, v12
	v_mul_lo_u32 v3, v10, s11
	v_add_u32_e32 v14, s19, v4
	v_sub_u32_e32 v10, v1, v13
	v_cmp_gt_i32_e32 vcc, 0, v14
	v_mad_u64_u32 v[3:4], s[2:3], v11, s10, v[3:4]
	v_add_u32_e32 v4, s18, v10
	v_cmp_gt_i32_e64 s[4:5], 0, v4
	v_mul_lo_u32 v3, s15, v3
	v_cmp_le_i32_e64 s[6:7], s14, v4
	s_or_b64 s[4:5], s[4:5], s[6:7]
	v_cmp_le_i32_e64 s[2:3], s15, v14
	v_add3_u32 v3, s19, v5, v3
	v_sub_u32_e32 v3, v3, v12
	v_sub_u32_e32 v3, v3, v6
	v_mad_u64_u32 v[4:5], s[6:7], s14, v3, v[0:1]
	v_mul_lo_u32 v3, s36, v11
	s_or_b64 s[2:3], vcc, s[2:3]
	s_nor_b64 s[2:3], s[2:3], s[4:5]
	v_sub_u32_e32 v5, v4, v13
	v_mov_b32_e32 v10, 0
	s_mov_b32 s6, s10
	s_branch .LBB34_7
.LBB34_6:                               ;   in Loop: Header=BB34_7 Depth=2
	s_or_b64 exec, exec, s[4:5]
	s_add_i32 s6, s6, -1
	v_add_u32_e32 v3, s35, v3
	s_cmp_eq_u32 s6, 0
	v_add_u32_e32 v5, s37, v5
	s_cbranch_scc1 .LBB34_3
.LBB34_7:                               ;   Parent Loop BB34_4 Depth=1
                                        ; =>  This Inner Loop Header: Depth=2
	s_and_saveexec_b64 s[4:5], s[2:3]
	s_cbranch_execz .LBB34_6
; %bb.8:                                ;   in Loop: Header=BB34_7 Depth=2
	v_ashrrev_i32_e32 v6, 31, v5
	v_lshlrev_b64 v[11:12], 2, v[5:6]
	v_mov_b32_e32 v4, s21
	v_add_co_u32_e32 v11, vcc, s20, v11
	v_addc_co_u32_e32 v12, vcc, v4, v12, vcc
	v_ashrrev_i32_e32 v4, 31, v3
	v_lshlrev_b64 v[13:14], 2, v[3:4]
	v_mov_b32_e32 v4, s25
	v_add_co_u32_e32 v13, vcc, s24, v13
	v_addc_co_u32_e32 v14, vcc, v4, v14, vcc
	global_load_dword v4, v[13:14], off
	global_load_dword v6, v[11:12], off
	s_waitcnt vmcnt(0)
	v_fmac_f32_e32 v10, v4, v6
	s_branch .LBB34_6
.LBB34_9:
	s_endpgm
	.section	.rodata,"a",@progbits
	.p2align	6, 0x0
	.amdhsa_kernel _ZN2at6native12_GLOBAL__N_132conv_depthwise2d_backward_kernelILi1ELi1EfiEEvN5torch10headeronly6detail27GenericPackedTensorAccessorINS5_14TensorAccessorIN3c108ArrayRefIlEEKT1_Lm3ENS4_16DefaultPtrTraitsEiEENS_6detail16IndexBoundsCheckILm4EiEESC_Lm4ESD_iEENS6_INS7_ISA_SB_Lm3ESD_iEESH_SB_Lm4ESD_iEESI_T2_iiiiiiiiiiiiiii
		.amdhsa_group_segment_fixed_size 0
		.amdhsa_private_segment_fixed_size 0
		.amdhsa_kernarg_size 440
		.amdhsa_user_sgpr_count 6
		.amdhsa_user_sgpr_private_segment_buffer 1
		.amdhsa_user_sgpr_dispatch_ptr 0
		.amdhsa_user_sgpr_queue_ptr 0
		.amdhsa_user_sgpr_kernarg_segment_ptr 1
		.amdhsa_user_sgpr_dispatch_id 0
		.amdhsa_user_sgpr_flat_scratch_init 0
		.amdhsa_user_sgpr_private_segment_size 0
		.amdhsa_uses_dynamic_stack 0
		.amdhsa_system_sgpr_private_segment_wavefront_offset 0
		.amdhsa_system_sgpr_workgroup_id_x 1
		.amdhsa_system_sgpr_workgroup_id_y 0
		.amdhsa_system_sgpr_workgroup_id_z 0
		.amdhsa_system_sgpr_workgroup_info 0
		.amdhsa_system_vgpr_workitem_id 0
		.amdhsa_next_free_vgpr 15
		.amdhsa_next_free_sgpr 40
		.amdhsa_reserve_vcc 1
		.amdhsa_reserve_flat_scratch 0
		.amdhsa_float_round_mode_32 0
		.amdhsa_float_round_mode_16_64 0
		.amdhsa_float_denorm_mode_32 3
		.amdhsa_float_denorm_mode_16_64 3
		.amdhsa_dx10_clamp 1
		.amdhsa_ieee_mode 1
		.amdhsa_fp16_overflow 0
		.amdhsa_exception_fp_ieee_invalid_op 0
		.amdhsa_exception_fp_denorm_src 0
		.amdhsa_exception_fp_ieee_div_zero 0
		.amdhsa_exception_fp_ieee_overflow 0
		.amdhsa_exception_fp_ieee_underflow 0
		.amdhsa_exception_fp_ieee_inexact 0
		.amdhsa_exception_int_div_zero 0
	.end_amdhsa_kernel
	.section	.text._ZN2at6native12_GLOBAL__N_132conv_depthwise2d_backward_kernelILi1ELi1EfiEEvN5torch10headeronly6detail27GenericPackedTensorAccessorINS5_14TensorAccessorIN3c108ArrayRefIlEEKT1_Lm3ENS4_16DefaultPtrTraitsEiEENS_6detail16IndexBoundsCheckILm4EiEESC_Lm4ESD_iEENS6_INS7_ISA_SB_Lm3ESD_iEESH_SB_Lm4ESD_iEESI_T2_iiiiiiiiiiiiiii,"axG",@progbits,_ZN2at6native12_GLOBAL__N_132conv_depthwise2d_backward_kernelILi1ELi1EfiEEvN5torch10headeronly6detail27GenericPackedTensorAccessorINS5_14TensorAccessorIN3c108ArrayRefIlEEKT1_Lm3ENS4_16DefaultPtrTraitsEiEENS_6detail16IndexBoundsCheckILm4EiEESC_Lm4ESD_iEENS6_INS7_ISA_SB_Lm3ESD_iEESH_SB_Lm4ESD_iEESI_T2_iiiiiiiiiiiiiii,comdat
.Lfunc_end34:
	.size	_ZN2at6native12_GLOBAL__N_132conv_depthwise2d_backward_kernelILi1ELi1EfiEEvN5torch10headeronly6detail27GenericPackedTensorAccessorINS5_14TensorAccessorIN3c108ArrayRefIlEEKT1_Lm3ENS4_16DefaultPtrTraitsEiEENS_6detail16IndexBoundsCheckILm4EiEESC_Lm4ESD_iEENS6_INS7_ISA_SB_Lm3ESD_iEESH_SB_Lm4ESD_iEESI_T2_iiiiiiiiiiiiiii, .Lfunc_end34-_ZN2at6native12_GLOBAL__N_132conv_depthwise2d_backward_kernelILi1ELi1EfiEEvN5torch10headeronly6detail27GenericPackedTensorAccessorINS5_14TensorAccessorIN3c108ArrayRefIlEEKT1_Lm3ENS4_16DefaultPtrTraitsEiEENS_6detail16IndexBoundsCheckILm4EiEESC_Lm4ESD_iEENS6_INS7_ISA_SB_Lm3ESD_iEESH_SB_Lm4ESD_iEESI_T2_iiiiiiiiiiiiiii
                                        ; -- End function
	.set _ZN2at6native12_GLOBAL__N_132conv_depthwise2d_backward_kernelILi1ELi1EfiEEvN5torch10headeronly6detail27GenericPackedTensorAccessorINS5_14TensorAccessorIN3c108ArrayRefIlEEKT1_Lm3ENS4_16DefaultPtrTraitsEiEENS_6detail16IndexBoundsCheckILm4EiEESC_Lm4ESD_iEENS6_INS7_ISA_SB_Lm3ESD_iEESH_SB_Lm4ESD_iEESI_T2_iiiiiiiiiiiiiii.num_vgpr, 15
	.set _ZN2at6native12_GLOBAL__N_132conv_depthwise2d_backward_kernelILi1ELi1EfiEEvN5torch10headeronly6detail27GenericPackedTensorAccessorINS5_14TensorAccessorIN3c108ArrayRefIlEEKT1_Lm3ENS4_16DefaultPtrTraitsEiEENS_6detail16IndexBoundsCheckILm4EiEESC_Lm4ESD_iEENS6_INS7_ISA_SB_Lm3ESD_iEESH_SB_Lm4ESD_iEESI_T2_iiiiiiiiiiiiiii.num_agpr, 0
	.set _ZN2at6native12_GLOBAL__N_132conv_depthwise2d_backward_kernelILi1ELi1EfiEEvN5torch10headeronly6detail27GenericPackedTensorAccessorINS5_14TensorAccessorIN3c108ArrayRefIlEEKT1_Lm3ENS4_16DefaultPtrTraitsEiEENS_6detail16IndexBoundsCheckILm4EiEESC_Lm4ESD_iEENS6_INS7_ISA_SB_Lm3ESD_iEESH_SB_Lm4ESD_iEESI_T2_iiiiiiiiiiiiiii.numbered_sgpr, 40
	.set _ZN2at6native12_GLOBAL__N_132conv_depthwise2d_backward_kernelILi1ELi1EfiEEvN5torch10headeronly6detail27GenericPackedTensorAccessorINS5_14TensorAccessorIN3c108ArrayRefIlEEKT1_Lm3ENS4_16DefaultPtrTraitsEiEENS_6detail16IndexBoundsCheckILm4EiEESC_Lm4ESD_iEENS6_INS7_ISA_SB_Lm3ESD_iEESH_SB_Lm4ESD_iEESI_T2_iiiiiiiiiiiiiii.num_named_barrier, 0
	.set _ZN2at6native12_GLOBAL__N_132conv_depthwise2d_backward_kernelILi1ELi1EfiEEvN5torch10headeronly6detail27GenericPackedTensorAccessorINS5_14TensorAccessorIN3c108ArrayRefIlEEKT1_Lm3ENS4_16DefaultPtrTraitsEiEENS_6detail16IndexBoundsCheckILm4EiEESC_Lm4ESD_iEENS6_INS7_ISA_SB_Lm3ESD_iEESH_SB_Lm4ESD_iEESI_T2_iiiiiiiiiiiiiii.private_seg_size, 0
	.set _ZN2at6native12_GLOBAL__N_132conv_depthwise2d_backward_kernelILi1ELi1EfiEEvN5torch10headeronly6detail27GenericPackedTensorAccessorINS5_14TensorAccessorIN3c108ArrayRefIlEEKT1_Lm3ENS4_16DefaultPtrTraitsEiEENS_6detail16IndexBoundsCheckILm4EiEESC_Lm4ESD_iEENS6_INS7_ISA_SB_Lm3ESD_iEESH_SB_Lm4ESD_iEESI_T2_iiiiiiiiiiiiiii.uses_vcc, 1
	.set _ZN2at6native12_GLOBAL__N_132conv_depthwise2d_backward_kernelILi1ELi1EfiEEvN5torch10headeronly6detail27GenericPackedTensorAccessorINS5_14TensorAccessorIN3c108ArrayRefIlEEKT1_Lm3ENS4_16DefaultPtrTraitsEiEENS_6detail16IndexBoundsCheckILm4EiEESC_Lm4ESD_iEENS6_INS7_ISA_SB_Lm3ESD_iEESH_SB_Lm4ESD_iEESI_T2_iiiiiiiiiiiiiii.uses_flat_scratch, 0
	.set _ZN2at6native12_GLOBAL__N_132conv_depthwise2d_backward_kernelILi1ELi1EfiEEvN5torch10headeronly6detail27GenericPackedTensorAccessorINS5_14TensorAccessorIN3c108ArrayRefIlEEKT1_Lm3ENS4_16DefaultPtrTraitsEiEENS_6detail16IndexBoundsCheckILm4EiEESC_Lm4ESD_iEENS6_INS7_ISA_SB_Lm3ESD_iEESH_SB_Lm4ESD_iEESI_T2_iiiiiiiiiiiiiii.has_dyn_sized_stack, 0
	.set _ZN2at6native12_GLOBAL__N_132conv_depthwise2d_backward_kernelILi1ELi1EfiEEvN5torch10headeronly6detail27GenericPackedTensorAccessorINS5_14TensorAccessorIN3c108ArrayRefIlEEKT1_Lm3ENS4_16DefaultPtrTraitsEiEENS_6detail16IndexBoundsCheckILm4EiEESC_Lm4ESD_iEENS6_INS7_ISA_SB_Lm3ESD_iEESH_SB_Lm4ESD_iEESI_T2_iiiiiiiiiiiiiii.has_recursion, 0
	.set _ZN2at6native12_GLOBAL__N_132conv_depthwise2d_backward_kernelILi1ELi1EfiEEvN5torch10headeronly6detail27GenericPackedTensorAccessorINS5_14TensorAccessorIN3c108ArrayRefIlEEKT1_Lm3ENS4_16DefaultPtrTraitsEiEENS_6detail16IndexBoundsCheckILm4EiEESC_Lm4ESD_iEENS6_INS7_ISA_SB_Lm3ESD_iEESH_SB_Lm4ESD_iEESI_T2_iiiiiiiiiiiiiii.has_indirect_call, 0
	.section	.AMDGPU.csdata,"",@progbits
; Kernel info:
; codeLenInByte = 908
; TotalNumSgprs: 44
; NumVgprs: 15
; ScratchSize: 0
; MemoryBound: 0
; FloatMode: 240
; IeeeMode: 1
; LDSByteSize: 0 bytes/workgroup (compile time only)
; SGPRBlocks: 5
; VGPRBlocks: 3
; NumSGPRsForWavesPerEU: 44
; NumVGPRsForWavesPerEU: 15
; Occupancy: 10
; WaveLimiterHint : 0
; COMPUTE_PGM_RSRC2:SCRATCH_EN: 0
; COMPUTE_PGM_RSRC2:USER_SGPR: 6
; COMPUTE_PGM_RSRC2:TRAP_HANDLER: 0
; COMPUTE_PGM_RSRC2:TGID_X_EN: 1
; COMPUTE_PGM_RSRC2:TGID_Y_EN: 0
; COMPUTE_PGM_RSRC2:TGID_Z_EN: 0
; COMPUTE_PGM_RSRC2:TIDIG_COMP_CNT: 0
	.section	.text._ZN2at6native12_GLOBAL__N_132conv_depthwise2d_backward_kernelILi1ELi2EfiEEvN5torch10headeronly6detail27GenericPackedTensorAccessorINS5_14TensorAccessorIN3c108ArrayRefIlEEKT1_Lm3ENS4_16DefaultPtrTraitsEiEENS_6detail16IndexBoundsCheckILm4EiEESC_Lm4ESD_iEENS6_INS7_ISA_SB_Lm3ESD_iEESH_SB_Lm4ESD_iEESI_T2_iiiiiiiiiiiiiii,"axG",@progbits,_ZN2at6native12_GLOBAL__N_132conv_depthwise2d_backward_kernelILi1ELi2EfiEEvN5torch10headeronly6detail27GenericPackedTensorAccessorINS5_14TensorAccessorIN3c108ArrayRefIlEEKT1_Lm3ENS4_16DefaultPtrTraitsEiEENS_6detail16IndexBoundsCheckILm4EiEESC_Lm4ESD_iEENS6_INS7_ISA_SB_Lm3ESD_iEESH_SB_Lm4ESD_iEESI_T2_iiiiiiiiiiiiiii,comdat
	.globl	_ZN2at6native12_GLOBAL__N_132conv_depthwise2d_backward_kernelILi1ELi2EfiEEvN5torch10headeronly6detail27GenericPackedTensorAccessorINS5_14TensorAccessorIN3c108ArrayRefIlEEKT1_Lm3ENS4_16DefaultPtrTraitsEiEENS_6detail16IndexBoundsCheckILm4EiEESC_Lm4ESD_iEENS6_INS7_ISA_SB_Lm3ESD_iEESH_SB_Lm4ESD_iEESI_T2_iiiiiiiiiiiiiii ; -- Begin function _ZN2at6native12_GLOBAL__N_132conv_depthwise2d_backward_kernelILi1ELi2EfiEEvN5torch10headeronly6detail27GenericPackedTensorAccessorINS5_14TensorAccessorIN3c108ArrayRefIlEEKT1_Lm3ENS4_16DefaultPtrTraitsEiEENS_6detail16IndexBoundsCheckILm4EiEESC_Lm4ESD_iEENS6_INS7_ISA_SB_Lm3ESD_iEESH_SB_Lm4ESD_iEESI_T2_iiiiiiiiiiiiiii
	.p2align	8
	.type	_ZN2at6native12_GLOBAL__N_132conv_depthwise2d_backward_kernelILi1ELi2EfiEEvN5torch10headeronly6detail27GenericPackedTensorAccessorINS5_14TensorAccessorIN3c108ArrayRefIlEEKT1_Lm3ENS4_16DefaultPtrTraitsEiEENS_6detail16IndexBoundsCheckILm4EiEESC_Lm4ESD_iEENS6_INS7_ISA_SB_Lm3ESD_iEESH_SB_Lm4ESD_iEESI_T2_iiiiiiiiiiiiiii,@function
_ZN2at6native12_GLOBAL__N_132conv_depthwise2d_backward_kernelILi1ELi2EfiEEvN5torch10headeronly6detail27GenericPackedTensorAccessorINS5_14TensorAccessorIN3c108ArrayRefIlEEKT1_Lm3ENS4_16DefaultPtrTraitsEiEENS_6detail16IndexBoundsCheckILm4EiEESC_Lm4ESD_iEENS6_INS7_ISA_SB_Lm3ESD_iEESH_SB_Lm4ESD_iEESI_T2_iiiiiiiiiiiiiii: ; @_ZN2at6native12_GLOBAL__N_132conv_depthwise2d_backward_kernelILi1ELi2EfiEEvN5torch10headeronly6detail27GenericPackedTensorAccessorINS5_14TensorAccessorIN3c108ArrayRefIlEEKT1_Lm3ENS4_16DefaultPtrTraitsEiEENS_6detail16IndexBoundsCheckILm4EiEESC_Lm4ESD_iEENS6_INS7_ISA_SB_Lm3ESD_iEESH_SB_Lm4ESD_iEESI_T2_iiiiiiiiiiiiiii
; %bb.0:
	s_load_dword s2, s[4:5], 0xc4
	s_load_dwordx8 s[12:19], s[4:5], 0x78
	s_add_u32 s0, s4, 0xb8
	s_addc_u32 s1, s5, 0
	v_mov_b32_e32 v1, 0
	s_waitcnt lgkmcnt(0)
	s_and_b32 s2, s2, 0xffff
	v_mov_b32_e32 v2, s6
	v_mad_u64_u32 v[0:1], s[6:7], s2, v2, v[0:1]
	s_ashr_i32 s11, s12, 31
	s_mov_b32 s10, s12
	v_cmp_gt_i64_e32 vcc, s[10:11], v[0:1]
	s_and_saveexec_b64 s[6:7], vcc
	s_cbranch_execz .LBB35_9
; %bb.1:
	s_cmp_gt_i32 s14, 0
	s_cselect_b64 s[6:7], -1, 0
	s_abs_i32 s12, s16
	v_cvt_f32_u32_e32 v2, s12
	s_abs_i32 s30, s17
	v_cvt_f32_u32_e32 v3, s30
	s_abs_i32 s31, s13
	v_rcp_iflag_f32_e32 v2, v2
	v_cvt_f32_u32_e32 v4, s31
	v_rcp_iflag_f32_e32 v3, v3
	s_load_dwordx2 s[8:9], s[4:5], 0x98
	s_load_dwordx2 s[22:23], s[4:5], 0x0
	;; [unrolled: 1-line block ×4, first 2 shown]
	s_load_dword s3, s[0:1], 0x0
	v_mul_f32_e32 v2, 0x4f7ffffe, v2
	v_rcp_iflag_f32_e32 v4, v4
	v_cvt_u32_f32_e32 v2, v2
	v_mul_f32_e32 v3, 0x4f7ffffe, v3
	s_sub_i32 s0, 0, s12
	v_cvt_u32_f32_e32 v3, v3
	v_mul_f32_e32 v4, 0x4f7ffffe, v4
	v_mul_lo_u32 v5, s0, v2
	v_cvt_u32_f32_e32 v4, v4
	s_sub_i32 s0, 0, s30
	v_mul_lo_u32 v6, s0, v3
	s_sub_i32 s0, 0, s31
	v_mul_hi_u32 v5, v2, v5
	v_mul_lo_u32 v7, s0, v4
	v_mul_hi_u32 v8, v3, v6
	s_load_dwordx2 s[20:21], s[4:5], 0xa8
	v_add_u32_e32 v6, v2, v5
	v_mul_hi_u32 v2, v4, v7
	v_add_u32_e32 v7, v3, v8
	s_waitcnt lgkmcnt(0)
	s_mul_i32 s37, s9, s8
	s_mul_i32 s33, s3, s2
	v_add_u32_e32 v8, v4, v2
	v_cndmask_b32_e64 v2, 0, 1, s[6:7]
	s_ashr_i32 s34, s16, 31
	s_ashr_i32 s35, s17, 31
	;; [unrolled: 1-line block ×3, first 2 shown]
	s_mul_i32 s38, s37, s14
	s_mul_i32 s39, s19, s18
	s_mov_b64 s[28:29], 0
	v_cmp_ne_u32_e64 s[0:1], 1, v2
	s_branch .LBB35_4
.LBB35_2:                               ;   in Loop: Header=BB35_4 Depth=1
	v_mov_b32_e32 v9, 0
.LBB35_3:                               ;   in Loop: Header=BB35_4 Depth=1
	v_lshlrev_b64 v[2:3], 2, v[0:1]
	v_add_co_u32_e32 v0, vcc, s33, v0
	v_addc_co_u32_e32 v1, vcc, 0, v1, vcc
	v_cmp_le_i64_e32 vcc, s[10:11], v[0:1]
	v_mov_b32_e32 v4, s25
	v_add_co_u32_e64 v2, s[2:3], s24, v2
	v_addc_co_u32_e64 v3, s[2:3], v4, v3, s[2:3]
	s_or_b64 s[28:29], vcc, s[28:29]
	global_store_dword v[2:3], v9, off
	s_andn2_b64 exec, exec, s[28:29]
	s_cbranch_execz .LBB35_9
.LBB35_4:                               ; =>This Loop Header: Depth=1
                                        ;     Child Loop BB35_7 Depth 2
	s_and_b64 vcc, exec, s[0:1]
	s_cbranch_vccnz .LBB35_2
; %bb.5:                                ;   in Loop: Header=BB35_4 Depth=1
	v_sub_u32_e32 v2, 0, v0
	v_max_i32_e32 v2, v0, v2
	v_mul_hi_u32 v3, v2, v6
	v_ashrrev_i32_e32 v5, 31, v0
	v_xor_b32_e32 v5, s34, v5
	v_mul_lo_u32 v4, v3, s12
	v_add_u32_e32 v9, 1, v3
	v_sub_u32_e32 v2, v2, v4
	v_cmp_le_u32_e32 vcc, s12, v2
	v_subrev_u32_e32 v4, s12, v2
	v_cndmask_b32_e32 v3, v3, v9, vcc
	v_cndmask_b32_e32 v2, v2, v4, vcc
	v_add_u32_e32 v4, 1, v3
	v_cmp_le_u32_e32 vcc, s12, v2
	v_cndmask_b32_e32 v2, v3, v4, vcc
	v_xor_b32_e32 v2, v2, v5
	v_sub_u32_e32 v2, v2, v5
	v_sub_u32_e32 v3, 0, v2
	v_max_i32_e32 v3, v2, v3
	v_mul_hi_u32 v4, v3, v7
	v_ashrrev_i32_e32 v9, 31, v2
	v_xor_b32_e32 v9, s35, v9
	v_mul_lo_u32 v5, v4, s30
	v_add_u32_e32 v10, 1, v4
	v_sub_u32_e32 v3, v3, v5
	v_cmp_le_u32_e32 vcc, s30, v3
	v_subrev_u32_e32 v5, s30, v3
	v_cndmask_b32_e32 v4, v4, v10, vcc
	v_cndmask_b32_e32 v3, v3, v5, vcc
	v_add_u32_e32 v5, 1, v4
	v_cmp_le_u32_e32 vcc, s30, v3
	v_cndmask_b32_e32 v3, v4, v5, vcc
	v_xor_b32_e32 v3, v3, v9
	v_sub_u32_e32 v3, v3, v9
	;; [unrolled: 17-line block ×3, first 2 shown]
	v_mul_lo_u32 v5, v4, s13
	v_mul_lo_u32 v9, v3, s17
	;; [unrolled: 1-line block ×4, first 2 shown]
	v_sub_u32_e32 v11, v3, v5
	v_sub_u32_e32 v2, v2, v9
	;; [unrolled: 1-line block ×3, first 2 shown]
	v_add_u32_e32 v2, s21, v2
	v_add_u32_e32 v3, s20, v3
	v_or_b32_e32 v5, v2, v3
	v_and_b32_e32 v5, 1, v5
	v_cmp_eq_u32_e32 vcc, 1, v5
	v_mad_u64_u32 v[4:5], s[40:41], v11, s14, v[4:5]
	v_ashrrev_i32_e32 v2, 1, v2
	v_ashrrev_i32_e32 v3, 1, v3
	v_cmp_gt_i32_e64 s[2:3], 0, v2
	v_cmp_le_i32_e64 s[4:5], s19, v2
	s_or_b64 s[2:3], s[2:3], s[4:5]
	v_mad_u64_u32 v[4:5], s[4:5], s19, v4, v[2:3]
	v_mul_lo_u32 v2, s38, v11
	v_cmp_gt_i32_e64 s[6:7], 0, v3
	v_mad_u64_u32 v[4:5], s[4:5], s18, v4, v[3:4]
	v_cmp_le_i32_e64 s[8:9], s18, v3
	s_or_b64 s[6:7], s[6:7], s[8:9]
	s_or_b64 s[2:3], vcc, s[2:3]
	s_nor_b64 s[2:3], s[2:3], s[6:7]
	v_mov_b32_e32 v9, 0
	s_mov_b32 s6, s14
	s_branch .LBB35_7
.LBB35_6:                               ;   in Loop: Header=BB35_7 Depth=2
	s_or_b64 exec, exec, s[4:5]
	s_add_i32 s6, s6, -1
	v_add_u32_e32 v2, s37, v2
	s_cmp_eq_u32 s6, 0
	v_add_u32_e32 v4, s39, v4
	s_cbranch_scc1 .LBB35_3
.LBB35_7:                               ;   Parent Loop BB35_4 Depth=1
                                        ; =>  This Inner Loop Header: Depth=2
	s_and_saveexec_b64 s[4:5], s[2:3]
	s_cbranch_execz .LBB35_6
; %bb.8:                                ;   in Loop: Header=BB35_7 Depth=2
	v_ashrrev_i32_e32 v5, 31, v4
	v_lshlrev_b64 v[10:11], 2, v[4:5]
	v_mov_b32_e32 v3, s23
	v_add_co_u32_e32 v10, vcc, s22, v10
	v_addc_co_u32_e32 v11, vcc, v3, v11, vcc
	v_ashrrev_i32_e32 v3, 31, v2
	v_lshlrev_b64 v[12:13], 2, v[2:3]
	v_mov_b32_e32 v3, s27
	v_add_co_u32_e32 v12, vcc, s26, v12
	v_addc_co_u32_e32 v13, vcc, v3, v13, vcc
	global_load_dword v3, v[12:13], off
	global_load_dword v5, v[10:11], off
	s_waitcnt vmcnt(0)
	v_fmac_f32_e32 v9, v3, v5
	s_branch .LBB35_6
.LBB35_9:
	s_endpgm
	.section	.rodata,"a",@progbits
	.p2align	6, 0x0
	.amdhsa_kernel _ZN2at6native12_GLOBAL__N_132conv_depthwise2d_backward_kernelILi1ELi2EfiEEvN5torch10headeronly6detail27GenericPackedTensorAccessorINS5_14TensorAccessorIN3c108ArrayRefIlEEKT1_Lm3ENS4_16DefaultPtrTraitsEiEENS_6detail16IndexBoundsCheckILm4EiEESC_Lm4ESD_iEENS6_INS7_ISA_SB_Lm3ESD_iEESH_SB_Lm4ESD_iEESI_T2_iiiiiiiiiiiiiii
		.amdhsa_group_segment_fixed_size 0
		.amdhsa_private_segment_fixed_size 0
		.amdhsa_kernarg_size 440
		.amdhsa_user_sgpr_count 6
		.amdhsa_user_sgpr_private_segment_buffer 1
		.amdhsa_user_sgpr_dispatch_ptr 0
		.amdhsa_user_sgpr_queue_ptr 0
		.amdhsa_user_sgpr_kernarg_segment_ptr 1
		.amdhsa_user_sgpr_dispatch_id 0
		.amdhsa_user_sgpr_flat_scratch_init 0
		.amdhsa_user_sgpr_private_segment_size 0
		.amdhsa_uses_dynamic_stack 0
		.amdhsa_system_sgpr_private_segment_wavefront_offset 0
		.amdhsa_system_sgpr_workgroup_id_x 1
		.amdhsa_system_sgpr_workgroup_id_y 0
		.amdhsa_system_sgpr_workgroup_id_z 0
		.amdhsa_system_sgpr_workgroup_info 0
		.amdhsa_system_vgpr_workitem_id 0
		.amdhsa_next_free_vgpr 14
		.amdhsa_next_free_sgpr 42
		.amdhsa_reserve_vcc 1
		.amdhsa_reserve_flat_scratch 0
		.amdhsa_float_round_mode_32 0
		.amdhsa_float_round_mode_16_64 0
		.amdhsa_float_denorm_mode_32 3
		.amdhsa_float_denorm_mode_16_64 3
		.amdhsa_dx10_clamp 1
		.amdhsa_ieee_mode 1
		.amdhsa_fp16_overflow 0
		.amdhsa_exception_fp_ieee_invalid_op 0
		.amdhsa_exception_fp_denorm_src 0
		.amdhsa_exception_fp_ieee_div_zero 0
		.amdhsa_exception_fp_ieee_overflow 0
		.amdhsa_exception_fp_ieee_underflow 0
		.amdhsa_exception_fp_ieee_inexact 0
		.amdhsa_exception_int_div_zero 0
	.end_amdhsa_kernel
	.section	.text._ZN2at6native12_GLOBAL__N_132conv_depthwise2d_backward_kernelILi1ELi2EfiEEvN5torch10headeronly6detail27GenericPackedTensorAccessorINS5_14TensorAccessorIN3c108ArrayRefIlEEKT1_Lm3ENS4_16DefaultPtrTraitsEiEENS_6detail16IndexBoundsCheckILm4EiEESC_Lm4ESD_iEENS6_INS7_ISA_SB_Lm3ESD_iEESH_SB_Lm4ESD_iEESI_T2_iiiiiiiiiiiiiii,"axG",@progbits,_ZN2at6native12_GLOBAL__N_132conv_depthwise2d_backward_kernelILi1ELi2EfiEEvN5torch10headeronly6detail27GenericPackedTensorAccessorINS5_14TensorAccessorIN3c108ArrayRefIlEEKT1_Lm3ENS4_16DefaultPtrTraitsEiEENS_6detail16IndexBoundsCheckILm4EiEESC_Lm4ESD_iEENS6_INS7_ISA_SB_Lm3ESD_iEESH_SB_Lm4ESD_iEESI_T2_iiiiiiiiiiiiiii,comdat
.Lfunc_end35:
	.size	_ZN2at6native12_GLOBAL__N_132conv_depthwise2d_backward_kernelILi1ELi2EfiEEvN5torch10headeronly6detail27GenericPackedTensorAccessorINS5_14TensorAccessorIN3c108ArrayRefIlEEKT1_Lm3ENS4_16DefaultPtrTraitsEiEENS_6detail16IndexBoundsCheckILm4EiEESC_Lm4ESD_iEENS6_INS7_ISA_SB_Lm3ESD_iEESH_SB_Lm4ESD_iEESI_T2_iiiiiiiiiiiiiii, .Lfunc_end35-_ZN2at6native12_GLOBAL__N_132conv_depthwise2d_backward_kernelILi1ELi2EfiEEvN5torch10headeronly6detail27GenericPackedTensorAccessorINS5_14TensorAccessorIN3c108ArrayRefIlEEKT1_Lm3ENS4_16DefaultPtrTraitsEiEENS_6detail16IndexBoundsCheckILm4EiEESC_Lm4ESD_iEENS6_INS7_ISA_SB_Lm3ESD_iEESH_SB_Lm4ESD_iEESI_T2_iiiiiiiiiiiiiii
                                        ; -- End function
	.set _ZN2at6native12_GLOBAL__N_132conv_depthwise2d_backward_kernelILi1ELi2EfiEEvN5torch10headeronly6detail27GenericPackedTensorAccessorINS5_14TensorAccessorIN3c108ArrayRefIlEEKT1_Lm3ENS4_16DefaultPtrTraitsEiEENS_6detail16IndexBoundsCheckILm4EiEESC_Lm4ESD_iEENS6_INS7_ISA_SB_Lm3ESD_iEESH_SB_Lm4ESD_iEESI_T2_iiiiiiiiiiiiiii.num_vgpr, 14
	.set _ZN2at6native12_GLOBAL__N_132conv_depthwise2d_backward_kernelILi1ELi2EfiEEvN5torch10headeronly6detail27GenericPackedTensorAccessorINS5_14TensorAccessorIN3c108ArrayRefIlEEKT1_Lm3ENS4_16DefaultPtrTraitsEiEENS_6detail16IndexBoundsCheckILm4EiEESC_Lm4ESD_iEENS6_INS7_ISA_SB_Lm3ESD_iEESH_SB_Lm4ESD_iEESI_T2_iiiiiiiiiiiiiii.num_agpr, 0
	.set _ZN2at6native12_GLOBAL__N_132conv_depthwise2d_backward_kernelILi1ELi2EfiEEvN5torch10headeronly6detail27GenericPackedTensorAccessorINS5_14TensorAccessorIN3c108ArrayRefIlEEKT1_Lm3ENS4_16DefaultPtrTraitsEiEENS_6detail16IndexBoundsCheckILm4EiEESC_Lm4ESD_iEENS6_INS7_ISA_SB_Lm3ESD_iEESH_SB_Lm4ESD_iEESI_T2_iiiiiiiiiiiiiii.numbered_sgpr, 42
	.set _ZN2at6native12_GLOBAL__N_132conv_depthwise2d_backward_kernelILi1ELi2EfiEEvN5torch10headeronly6detail27GenericPackedTensorAccessorINS5_14TensorAccessorIN3c108ArrayRefIlEEKT1_Lm3ENS4_16DefaultPtrTraitsEiEENS_6detail16IndexBoundsCheckILm4EiEESC_Lm4ESD_iEENS6_INS7_ISA_SB_Lm3ESD_iEESH_SB_Lm4ESD_iEESI_T2_iiiiiiiiiiiiiii.num_named_barrier, 0
	.set _ZN2at6native12_GLOBAL__N_132conv_depthwise2d_backward_kernelILi1ELi2EfiEEvN5torch10headeronly6detail27GenericPackedTensorAccessorINS5_14TensorAccessorIN3c108ArrayRefIlEEKT1_Lm3ENS4_16DefaultPtrTraitsEiEENS_6detail16IndexBoundsCheckILm4EiEESC_Lm4ESD_iEENS6_INS7_ISA_SB_Lm3ESD_iEESH_SB_Lm4ESD_iEESI_T2_iiiiiiiiiiiiiii.private_seg_size, 0
	.set _ZN2at6native12_GLOBAL__N_132conv_depthwise2d_backward_kernelILi1ELi2EfiEEvN5torch10headeronly6detail27GenericPackedTensorAccessorINS5_14TensorAccessorIN3c108ArrayRefIlEEKT1_Lm3ENS4_16DefaultPtrTraitsEiEENS_6detail16IndexBoundsCheckILm4EiEESC_Lm4ESD_iEENS6_INS7_ISA_SB_Lm3ESD_iEESH_SB_Lm4ESD_iEESI_T2_iiiiiiiiiiiiiii.uses_vcc, 1
	.set _ZN2at6native12_GLOBAL__N_132conv_depthwise2d_backward_kernelILi1ELi2EfiEEvN5torch10headeronly6detail27GenericPackedTensorAccessorINS5_14TensorAccessorIN3c108ArrayRefIlEEKT1_Lm3ENS4_16DefaultPtrTraitsEiEENS_6detail16IndexBoundsCheckILm4EiEESC_Lm4ESD_iEENS6_INS7_ISA_SB_Lm3ESD_iEESH_SB_Lm4ESD_iEESI_T2_iiiiiiiiiiiiiii.uses_flat_scratch, 0
	.set _ZN2at6native12_GLOBAL__N_132conv_depthwise2d_backward_kernelILi1ELi2EfiEEvN5torch10headeronly6detail27GenericPackedTensorAccessorINS5_14TensorAccessorIN3c108ArrayRefIlEEKT1_Lm3ENS4_16DefaultPtrTraitsEiEENS_6detail16IndexBoundsCheckILm4EiEESC_Lm4ESD_iEENS6_INS7_ISA_SB_Lm3ESD_iEESH_SB_Lm4ESD_iEESI_T2_iiiiiiiiiiiiiii.has_dyn_sized_stack, 0
	.set _ZN2at6native12_GLOBAL__N_132conv_depthwise2d_backward_kernelILi1ELi2EfiEEvN5torch10headeronly6detail27GenericPackedTensorAccessorINS5_14TensorAccessorIN3c108ArrayRefIlEEKT1_Lm3ENS4_16DefaultPtrTraitsEiEENS_6detail16IndexBoundsCheckILm4EiEESC_Lm4ESD_iEENS6_INS7_ISA_SB_Lm3ESD_iEESH_SB_Lm4ESD_iEESI_T2_iiiiiiiiiiiiiii.has_recursion, 0
	.set _ZN2at6native12_GLOBAL__N_132conv_depthwise2d_backward_kernelILi1ELi2EfiEEvN5torch10headeronly6detail27GenericPackedTensorAccessorINS5_14TensorAccessorIN3c108ArrayRefIlEEKT1_Lm3ENS4_16DefaultPtrTraitsEiEENS_6detail16IndexBoundsCheckILm4EiEESC_Lm4ESD_iEENS6_INS7_ISA_SB_Lm3ESD_iEESH_SB_Lm4ESD_iEESI_T2_iiiiiiiiiiiiiii.has_indirect_call, 0
	.section	.AMDGPU.csdata,"",@progbits
; Kernel info:
; codeLenInByte = 908
; TotalNumSgprs: 46
; NumVgprs: 14
; ScratchSize: 0
; MemoryBound: 0
; FloatMode: 240
; IeeeMode: 1
; LDSByteSize: 0 bytes/workgroup (compile time only)
; SGPRBlocks: 5
; VGPRBlocks: 3
; NumSGPRsForWavesPerEU: 46
; NumVGPRsForWavesPerEU: 14
; Occupancy: 10
; WaveLimiterHint : 0
; COMPUTE_PGM_RSRC2:SCRATCH_EN: 0
; COMPUTE_PGM_RSRC2:USER_SGPR: 6
; COMPUTE_PGM_RSRC2:TRAP_HANDLER: 0
; COMPUTE_PGM_RSRC2:TGID_X_EN: 1
; COMPUTE_PGM_RSRC2:TGID_Y_EN: 0
; COMPUTE_PGM_RSRC2:TGID_Z_EN: 0
; COMPUTE_PGM_RSRC2:TIDIG_COMP_CNT: 0
	.section	.text._ZN2at6native12_GLOBAL__N_132conv_depthwise2d_backward_kernelILi1ELi0EfiEEvN5torch10headeronly6detail27GenericPackedTensorAccessorINS5_14TensorAccessorIN3c108ArrayRefIlEEKT1_Lm3ENS4_16DefaultPtrTraitsEiEENS_6detail16IndexBoundsCheckILm4EiEESC_Lm4ESD_iEENS6_INS7_ISA_SB_Lm3ESD_iEESH_SB_Lm4ESD_iEESI_T2_iiiiiiiiiiiiiii,"axG",@progbits,_ZN2at6native12_GLOBAL__N_132conv_depthwise2d_backward_kernelILi1ELi0EfiEEvN5torch10headeronly6detail27GenericPackedTensorAccessorINS5_14TensorAccessorIN3c108ArrayRefIlEEKT1_Lm3ENS4_16DefaultPtrTraitsEiEENS_6detail16IndexBoundsCheckILm4EiEESC_Lm4ESD_iEENS6_INS7_ISA_SB_Lm3ESD_iEESH_SB_Lm4ESD_iEESI_T2_iiiiiiiiiiiiiii,comdat
	.globl	_ZN2at6native12_GLOBAL__N_132conv_depthwise2d_backward_kernelILi1ELi0EfiEEvN5torch10headeronly6detail27GenericPackedTensorAccessorINS5_14TensorAccessorIN3c108ArrayRefIlEEKT1_Lm3ENS4_16DefaultPtrTraitsEiEENS_6detail16IndexBoundsCheckILm4EiEESC_Lm4ESD_iEENS6_INS7_ISA_SB_Lm3ESD_iEESH_SB_Lm4ESD_iEESI_T2_iiiiiiiiiiiiiii ; -- Begin function _ZN2at6native12_GLOBAL__N_132conv_depthwise2d_backward_kernelILi1ELi0EfiEEvN5torch10headeronly6detail27GenericPackedTensorAccessorINS5_14TensorAccessorIN3c108ArrayRefIlEEKT1_Lm3ENS4_16DefaultPtrTraitsEiEENS_6detail16IndexBoundsCheckILm4EiEESC_Lm4ESD_iEENS6_INS7_ISA_SB_Lm3ESD_iEESH_SB_Lm4ESD_iEESI_T2_iiiiiiiiiiiiiii
	.p2align	8
	.type	_ZN2at6native12_GLOBAL__N_132conv_depthwise2d_backward_kernelILi1ELi0EfiEEvN5torch10headeronly6detail27GenericPackedTensorAccessorINS5_14TensorAccessorIN3c108ArrayRefIlEEKT1_Lm3ENS4_16DefaultPtrTraitsEiEENS_6detail16IndexBoundsCheckILm4EiEESC_Lm4ESD_iEENS6_INS7_ISA_SB_Lm3ESD_iEESH_SB_Lm4ESD_iEESI_T2_iiiiiiiiiiiiiii,@function
_ZN2at6native12_GLOBAL__N_132conv_depthwise2d_backward_kernelILi1ELi0EfiEEvN5torch10headeronly6detail27GenericPackedTensorAccessorINS5_14TensorAccessorIN3c108ArrayRefIlEEKT1_Lm3ENS4_16DefaultPtrTraitsEiEENS_6detail16IndexBoundsCheckILm4EiEESC_Lm4ESD_iEENS6_INS7_ISA_SB_Lm3ESD_iEESH_SB_Lm4ESD_iEESI_T2_iiiiiiiiiiiiiii: ; @_ZN2at6native12_GLOBAL__N_132conv_depthwise2d_backward_kernelILi1ELi0EfiEEvN5torch10headeronly6detail27GenericPackedTensorAccessorINS5_14TensorAccessorIN3c108ArrayRefIlEEKT1_Lm3ENS4_16DefaultPtrTraitsEiEENS_6detail16IndexBoundsCheckILm4EiEESC_Lm4ESD_iEENS6_INS7_ISA_SB_Lm3ESD_iEESH_SB_Lm4ESD_iEESI_T2_iiiiiiiiiiiiiii
; %bb.0:
	s_load_dword s2, s[4:5], 0xc4
	s_load_dwordx8 s[8:15], s[4:5], 0x78
	s_add_u32 s0, s4, 0xb8
	s_addc_u32 s1, s5, 0
	v_mov_b32_e32 v1, 0
	s_waitcnt lgkmcnt(0)
	s_and_b32 s2, s2, 0xffff
	v_mov_b32_e32 v2, s6
	v_mad_u64_u32 v[0:1], s[6:7], s2, v2, v[0:1]
	s_ashr_i32 s21, s8, 31
	s_mov_b32 s20, s8
	v_cmp_gt_i64_e32 vcc, s[20:21], v[0:1]
	s_and_saveexec_b64 s[6:7], vcc
	s_cbranch_execz .LBB36_13
; %bb.1:
	s_cmp_gt_i32 s10, 0
	s_load_dwordx4 s[16:19], s[4:5], 0x98
	s_load_dwordx2 s[22:23], s[4:5], 0xa8
	s_load_dword s3, s[0:1], 0x0
	s_cselect_b64 s[0:1], -1, 0
	s_abs_i32 s8, s12
	v_cvt_f32_u32_e32 v2, s8
	s_abs_i32 s33, s13
	v_cvt_f32_u32_e32 v3, s33
	s_waitcnt lgkmcnt(0)
	s_mul_i32 s38, s3, s2
	v_rcp_iflag_f32_e32 v2, v2
	s_sub_i32 s2, 0, s8
	v_rcp_iflag_f32_e32 v3, v3
	s_abs_i32 s40, s9
	v_mul_f32_e32 v2, 0x4f7ffffe, v2
	v_cvt_u32_f32_e32 v2, v2
	v_mul_f32_e32 v3, 0x4f7ffffe, v3
	v_cvt_f32_u32_e32 v5, s40
	v_cvt_u32_f32_e32 v3, v3
	v_mul_lo_u32 v4, s2, v2
	s_sub_i32 s2, 0, s33
	v_rcp_iflag_f32_e32 v5, v5
	v_mul_lo_u32 v7, s2, v3
	v_mul_hi_u32 v4, v2, v4
	s_abs_i32 s42, s19
	s_abs_i32 s43, s18
	v_cvt_f32_u32_e32 v8, s43
	v_add_u32_e32 v6, v2, v4
	v_mul_f32_e32 v4, 0x4f7ffffe, v5
	v_cvt_f32_u32_e32 v5, s42
	v_mul_hi_u32 v2, v3, v7
	v_cvt_u32_f32_e32 v4, v4
	s_sub_i32 s2, 0, s40
	v_rcp_iflag_f32_e32 v5, v5
	v_add_u32_e32 v7, v3, v2
	v_rcp_iflag_f32_e32 v2, v8
	v_mul_lo_u32 v9, s2, v4
	v_mul_f32_e32 v5, 0x4f7ffffe, v5
	v_cvt_u32_f32_e32 v5, v5
	v_mul_f32_e32 v2, 0x4f7ffffe, v2
	v_cvt_u32_f32_e32 v2, v2
	s_sub_i32 s2, 0, s42
	v_mul_lo_u32 v8, s2, v5
	s_sub_i32 s2, 0, s43
	v_mul_hi_u32 v3, v4, v9
	v_mul_lo_u32 v9, s2, v2
	s_load_dwordx2 s[24:25], s[4:5], 0x0
	s_load_dwordx2 s[26:27], s[4:5], 0x28
	;; [unrolled: 1-line block ×3, first 2 shown]
	v_mul_hi_u32 v10, v5, v8
	v_add_u32_e32 v8, v4, v3
	v_mul_hi_u32 v3, v2, v9
	s_mul_i32 s47, s17, s16
	v_add_u32_e32 v9, v5, v10
	s_ashr_i32 s39, s12, 31
	v_add_u32_e32 v10, v2, v3
	v_cndmask_b32_e64 v2, 0, 1, s[0:1]
	s_ashr_i32 s41, s13, 31
	s_ashr_i32 s44, s9, 31
	;; [unrolled: 1-line block ×4, first 2 shown]
	s_mul_i32 s48, s47, s10
	s_mul_i32 s49, s15, s14
	s_mov_b64 s[16:17], 0
	v_cmp_ne_u32_e64 s[0:1], 1, v2
	s_branch .LBB36_4
.LBB36_2:                               ;   in Loop: Header=BB36_4 Depth=1
	v_mov_b32_e32 v11, 0
.LBB36_3:                               ;   in Loop: Header=BB36_4 Depth=1
	v_lshlrev_b64 v[2:3], 2, v[0:1]
	v_add_co_u32_e32 v0, vcc, s38, v0
	v_addc_co_u32_e32 v1, vcc, 0, v1, vcc
	v_cmp_le_i64_e32 vcc, s[20:21], v[0:1]
	s_waitcnt lgkmcnt(0)
	v_mov_b32_e32 v4, s27
	v_add_co_u32_e64 v2, s[2:3], s26, v2
	v_addc_co_u32_e64 v3, s[2:3], v4, v3, s[2:3]
	s_or_b64 s[16:17], vcc, s[16:17]
	global_store_dword v[2:3], v11, off
	s_andn2_b64 exec, exec, s[16:17]
	s_cbranch_execz .LBB36_13
.LBB36_4:                               ; =>This Loop Header: Depth=1
                                        ;     Child Loop BB36_9 Depth 2
	s_and_b64 vcc, exec, s[0:1]
	s_cbranch_vccnz .LBB36_2
; %bb.5:                                ;   in Loop: Header=BB36_4 Depth=1
	v_sub_u32_e32 v2, 0, v0
	v_max_i32_e32 v2, v0, v2
	v_mul_hi_u32 v3, v2, v6
	v_ashrrev_i32_e32 v5, 31, v0
	v_xor_b32_e32 v5, s39, v5
	s_mov_b32 s50, s10
	v_mul_lo_u32 v4, v3, s8
	v_add_u32_e32 v11, 1, v3
	v_sub_u32_e32 v2, v2, v4
	v_cmp_le_u32_e32 vcc, s8, v2
	v_subrev_u32_e32 v4, s8, v2
	v_cndmask_b32_e32 v3, v3, v11, vcc
	v_cndmask_b32_e32 v2, v2, v4, vcc
	v_add_u32_e32 v4, 1, v3
	v_cmp_le_u32_e32 vcc, s8, v2
	v_cndmask_b32_e32 v2, v3, v4, vcc
	v_xor_b32_e32 v2, v2, v5
	v_sub_u32_e32 v2, v2, v5
	v_sub_u32_e32 v3, 0, v2
	v_max_i32_e32 v3, v2, v3
	v_mul_hi_u32 v4, v3, v7
	v_ashrrev_i32_e32 v11, 31, v2
	v_xor_b32_e32 v11, s41, v11
	v_mul_lo_u32 v5, v4, s33
	v_add_u32_e32 v12, 1, v4
	v_sub_u32_e32 v3, v3, v5
	v_cmp_le_u32_e32 vcc, s33, v3
	v_subrev_u32_e32 v5, s33, v3
	v_cndmask_b32_e32 v4, v4, v12, vcc
	v_cndmask_b32_e32 v3, v3, v5, vcc
	v_add_u32_e32 v5, 1, v4
	v_cmp_le_u32_e32 vcc, s33, v3
	v_cndmask_b32_e32 v3, v4, v5, vcc
	v_xor_b32_e32 v3, v3, v11
	v_sub_u32_e32 v3, v3, v11
	v_sub_u32_e32 v4, 0, v3
	v_max_i32_e32 v4, v3, v4
	v_mul_hi_u32 v5, v4, v8
	v_ashrrev_i32_e32 v12, 31, v3
	v_xor_b32_e32 v12, s44, v12
	v_mul_lo_u32 v11, v5, s40
	v_add_u32_e32 v13, 1, v5
	v_sub_u32_e32 v4, v4, v11
	v_cmp_le_u32_e32 vcc, s40, v4
	v_cndmask_b32_e32 v5, v5, v13, vcc
	v_mul_lo_u32 v13, v3, s13
	v_subrev_u32_e32 v11, s40, v4
	v_cndmask_b32_e32 v4, v4, v11, vcc
	v_add_u32_e32 v11, 1, v5
	v_cmp_le_u32_e32 vcc, s40, v4
	v_cndmask_b32_e32 v4, v5, v11, vcc
	v_sub_u32_e32 v5, v2, v13
	v_add_u32_e32 v5, s23, v5
	v_sub_u32_e32 v11, 0, v5
	v_max_i32_e32 v11, v5, v11
	v_mul_hi_u32 v13, v11, v9
	v_mul_lo_u32 v2, v2, s12
	v_xor_b32_e32 v4, v4, v12
	v_sub_u32_e32 v4, v4, v12
	v_mul_lo_u32 v14, v13, s42
	v_sub_u32_e32 v2, v0, v2
	v_add_u32_e32 v15, s22, v2
	v_ashrrev_i32_e32 v2, 31, v5
	v_xor_b32_e32 v16, s45, v2
	v_sub_u32_e32 v2, v11, v14
	v_add_u32_e32 v11, 1, v13
	v_cmp_le_u32_e32 vcc, s42, v2
	v_cndmask_b32_e32 v11, v13, v11, vcc
	v_subrev_u32_e32 v13, s42, v2
	v_cndmask_b32_e32 v2, v2, v13, vcc
	v_add_u32_e32 v13, 1, v11
	v_cmp_le_u32_e32 vcc, s42, v2
	v_cndmask_b32_e32 v2, v11, v13, vcc
	v_sub_u32_e32 v13, 0, v15
	v_max_i32_e32 v13, v15, v13
	v_mul_lo_u32 v12, v4, s9
	v_mul_hi_u32 v14, v13, v10
	v_xor_b32_e32 v2, v2, v16
	v_sub_u32_e32 v11, v2, v16
	v_sub_u32_e32 v12, v3, v12
	v_mul_lo_u32 v3, v14, s43
	v_mul_lo_u32 v17, v11, s19
	;; [unrolled: 1-line block ×3, first 2 shown]
	v_sub_u32_e32 v3, v13, v3
	v_add_u32_e32 v13, 1, v14
	v_cmp_le_u32_e32 vcc, s43, v3
	v_cndmask_b32_e32 v13, v14, v13, vcc
	v_subrev_u32_e32 v14, s43, v3
	v_cndmask_b32_e32 v3, v3, v14, vcc
	v_sub_u32_e32 v5, v5, v17
	v_ashrrev_i32_e32 v17, 31, v15
	v_add_u32_e32 v14, 1, v13
	v_cmp_le_u32_e32 vcc, s43, v3
	v_xor_b32_e32 v17, s46, v17
	v_cndmask_b32_e32 v3, v13, v14, vcc
	v_xor_b32_e32 v3, v3, v17
	v_sub_u32_e32 v13, v3, v17
	v_mul_lo_u32 v14, v13, s18
	v_cmp_eq_u32_e32 vcc, 0, v5
	v_cmp_gt_i32_e64 s[6:7], s14, v13
	v_sub_u32_e32 v5, v15, v14
	v_cmp_eq_u32_e64 s[2:3], 0, v5
	v_mad_u64_u32 v[4:5], s[4:5], v12, s10, v[4:5]
	v_cmp_lt_i32_e64 s[4:5], -1, v11
	s_and_b64 s[30:31], s[2:3], s[4:5]
	v_mad_u64_u32 v[4:5], s[2:3], s15, v4, v[2:3]
	v_cmp_lt_i32_e64 s[4:5], -1, v13
	v_cmp_gt_i32_e64 s[2:3], s15, v11
	v_sub_u32_e32 v2, v4, v16
	v_mad_u64_u32 v[3:4], s[34:35], s14, v2, v[3:4]
	v_mul_lo_u32 v2, s48, v12
	s_and_b64 s[4:5], s[4:5], s[6:7]
	s_and_b64 s[4:5], s[2:3], s[4:5]
	v_sub_u32_e32 v4, v3, v17
	v_mov_b32_e32 v11, 0
	s_branch .LBB36_9
.LBB36_6:                               ;   in Loop: Header=BB36_9 Depth=2
	s_or_b64 exec, exec, s[36:37]
.LBB36_7:                               ;   in Loop: Header=BB36_9 Depth=2
	s_or_b64 exec, exec, s[34:35]
.LBB36_8:                               ;   in Loop: Header=BB36_9 Depth=2
	s_or_b64 exec, exec, s[6:7]
	s_add_i32 s50, s50, -1
	v_add_u32_e32 v2, s47, v2
	s_cmp_eq_u32 s50, 0
	v_add_u32_e32 v4, s49, v4
	s_cbranch_scc1 .LBB36_3
.LBB36_9:                               ;   Parent Loop BB36_4 Depth=1
                                        ; =>  This Inner Loop Header: Depth=2
	s_and_saveexec_b64 s[6:7], vcc
	s_cbranch_execz .LBB36_8
; %bb.10:                               ;   in Loop: Header=BB36_9 Depth=2
	s_and_saveexec_b64 s[34:35], s[30:31]
	s_cbranch_execz .LBB36_7
; %bb.11:                               ;   in Loop: Header=BB36_9 Depth=2
	s_and_saveexec_b64 s[36:37], s[4:5]
	s_cbranch_execz .LBB36_6
; %bb.12:                               ;   in Loop: Header=BB36_9 Depth=2
	v_ashrrev_i32_e32 v3, 31, v2
	v_lshlrev_b64 v[12:13], 2, v[2:3]
	s_waitcnt lgkmcnt(0)
	v_mov_b32_e32 v3, s29
	v_add_co_u32_e64 v12, s[2:3], s28, v12
	v_addc_co_u32_e64 v13, s[2:3], v3, v13, s[2:3]
	v_ashrrev_i32_e32 v5, 31, v4
	global_load_dword v3, v[12:13], off
	v_lshlrev_b64 v[12:13], 2, v[4:5]
	v_mov_b32_e32 v5, s25
	v_add_co_u32_e64 v12, s[2:3], s24, v12
	v_addc_co_u32_e64 v13, s[2:3], v5, v13, s[2:3]
	global_load_dword v5, v[12:13], off
	s_waitcnt vmcnt(0)
	v_fmac_f32_e32 v11, v3, v5
	s_branch .LBB36_6
.LBB36_13:
	s_endpgm
	.section	.rodata,"a",@progbits
	.p2align	6, 0x0
	.amdhsa_kernel _ZN2at6native12_GLOBAL__N_132conv_depthwise2d_backward_kernelILi1ELi0EfiEEvN5torch10headeronly6detail27GenericPackedTensorAccessorINS5_14TensorAccessorIN3c108ArrayRefIlEEKT1_Lm3ENS4_16DefaultPtrTraitsEiEENS_6detail16IndexBoundsCheckILm4EiEESC_Lm4ESD_iEENS6_INS7_ISA_SB_Lm3ESD_iEESH_SB_Lm4ESD_iEESI_T2_iiiiiiiiiiiiiii
		.amdhsa_group_segment_fixed_size 0
		.amdhsa_private_segment_fixed_size 0
		.amdhsa_kernarg_size 440
		.amdhsa_user_sgpr_count 6
		.amdhsa_user_sgpr_private_segment_buffer 1
		.amdhsa_user_sgpr_dispatch_ptr 0
		.amdhsa_user_sgpr_queue_ptr 0
		.amdhsa_user_sgpr_kernarg_segment_ptr 1
		.amdhsa_user_sgpr_dispatch_id 0
		.amdhsa_user_sgpr_flat_scratch_init 0
		.amdhsa_user_sgpr_private_segment_size 0
		.amdhsa_uses_dynamic_stack 0
		.amdhsa_system_sgpr_private_segment_wavefront_offset 0
		.amdhsa_system_sgpr_workgroup_id_x 1
		.amdhsa_system_sgpr_workgroup_id_y 0
		.amdhsa_system_sgpr_workgroup_id_z 0
		.amdhsa_system_sgpr_workgroup_info 0
		.amdhsa_system_vgpr_workitem_id 0
		.amdhsa_next_free_vgpr 18
		.amdhsa_next_free_sgpr 51
		.amdhsa_reserve_vcc 1
		.amdhsa_reserve_flat_scratch 0
		.amdhsa_float_round_mode_32 0
		.amdhsa_float_round_mode_16_64 0
		.amdhsa_float_denorm_mode_32 3
		.amdhsa_float_denorm_mode_16_64 3
		.amdhsa_dx10_clamp 1
		.amdhsa_ieee_mode 1
		.amdhsa_fp16_overflow 0
		.amdhsa_exception_fp_ieee_invalid_op 0
		.amdhsa_exception_fp_denorm_src 0
		.amdhsa_exception_fp_ieee_div_zero 0
		.amdhsa_exception_fp_ieee_overflow 0
		.amdhsa_exception_fp_ieee_underflow 0
		.amdhsa_exception_fp_ieee_inexact 0
		.amdhsa_exception_int_div_zero 0
	.end_amdhsa_kernel
	.section	.text._ZN2at6native12_GLOBAL__N_132conv_depthwise2d_backward_kernelILi1ELi0EfiEEvN5torch10headeronly6detail27GenericPackedTensorAccessorINS5_14TensorAccessorIN3c108ArrayRefIlEEKT1_Lm3ENS4_16DefaultPtrTraitsEiEENS_6detail16IndexBoundsCheckILm4EiEESC_Lm4ESD_iEENS6_INS7_ISA_SB_Lm3ESD_iEESH_SB_Lm4ESD_iEESI_T2_iiiiiiiiiiiiiii,"axG",@progbits,_ZN2at6native12_GLOBAL__N_132conv_depthwise2d_backward_kernelILi1ELi0EfiEEvN5torch10headeronly6detail27GenericPackedTensorAccessorINS5_14TensorAccessorIN3c108ArrayRefIlEEKT1_Lm3ENS4_16DefaultPtrTraitsEiEENS_6detail16IndexBoundsCheckILm4EiEESC_Lm4ESD_iEENS6_INS7_ISA_SB_Lm3ESD_iEESH_SB_Lm4ESD_iEESI_T2_iiiiiiiiiiiiiii,comdat
.Lfunc_end36:
	.size	_ZN2at6native12_GLOBAL__N_132conv_depthwise2d_backward_kernelILi1ELi0EfiEEvN5torch10headeronly6detail27GenericPackedTensorAccessorINS5_14TensorAccessorIN3c108ArrayRefIlEEKT1_Lm3ENS4_16DefaultPtrTraitsEiEENS_6detail16IndexBoundsCheckILm4EiEESC_Lm4ESD_iEENS6_INS7_ISA_SB_Lm3ESD_iEESH_SB_Lm4ESD_iEESI_T2_iiiiiiiiiiiiiii, .Lfunc_end36-_ZN2at6native12_GLOBAL__N_132conv_depthwise2d_backward_kernelILi1ELi0EfiEEvN5torch10headeronly6detail27GenericPackedTensorAccessorINS5_14TensorAccessorIN3c108ArrayRefIlEEKT1_Lm3ENS4_16DefaultPtrTraitsEiEENS_6detail16IndexBoundsCheckILm4EiEESC_Lm4ESD_iEENS6_INS7_ISA_SB_Lm3ESD_iEESH_SB_Lm4ESD_iEESI_T2_iiiiiiiiiiiiiii
                                        ; -- End function
	.set _ZN2at6native12_GLOBAL__N_132conv_depthwise2d_backward_kernelILi1ELi0EfiEEvN5torch10headeronly6detail27GenericPackedTensorAccessorINS5_14TensorAccessorIN3c108ArrayRefIlEEKT1_Lm3ENS4_16DefaultPtrTraitsEiEENS_6detail16IndexBoundsCheckILm4EiEESC_Lm4ESD_iEENS6_INS7_ISA_SB_Lm3ESD_iEESH_SB_Lm4ESD_iEESI_T2_iiiiiiiiiiiiiii.num_vgpr, 18
	.set _ZN2at6native12_GLOBAL__N_132conv_depthwise2d_backward_kernelILi1ELi0EfiEEvN5torch10headeronly6detail27GenericPackedTensorAccessorINS5_14TensorAccessorIN3c108ArrayRefIlEEKT1_Lm3ENS4_16DefaultPtrTraitsEiEENS_6detail16IndexBoundsCheckILm4EiEESC_Lm4ESD_iEENS6_INS7_ISA_SB_Lm3ESD_iEESH_SB_Lm4ESD_iEESI_T2_iiiiiiiiiiiiiii.num_agpr, 0
	.set _ZN2at6native12_GLOBAL__N_132conv_depthwise2d_backward_kernelILi1ELi0EfiEEvN5torch10headeronly6detail27GenericPackedTensorAccessorINS5_14TensorAccessorIN3c108ArrayRefIlEEKT1_Lm3ENS4_16DefaultPtrTraitsEiEENS_6detail16IndexBoundsCheckILm4EiEESC_Lm4ESD_iEENS6_INS7_ISA_SB_Lm3ESD_iEESH_SB_Lm4ESD_iEESI_T2_iiiiiiiiiiiiiii.numbered_sgpr, 51
	.set _ZN2at6native12_GLOBAL__N_132conv_depthwise2d_backward_kernelILi1ELi0EfiEEvN5torch10headeronly6detail27GenericPackedTensorAccessorINS5_14TensorAccessorIN3c108ArrayRefIlEEKT1_Lm3ENS4_16DefaultPtrTraitsEiEENS_6detail16IndexBoundsCheckILm4EiEESC_Lm4ESD_iEENS6_INS7_ISA_SB_Lm3ESD_iEESH_SB_Lm4ESD_iEESI_T2_iiiiiiiiiiiiiii.num_named_barrier, 0
	.set _ZN2at6native12_GLOBAL__N_132conv_depthwise2d_backward_kernelILi1ELi0EfiEEvN5torch10headeronly6detail27GenericPackedTensorAccessorINS5_14TensorAccessorIN3c108ArrayRefIlEEKT1_Lm3ENS4_16DefaultPtrTraitsEiEENS_6detail16IndexBoundsCheckILm4EiEESC_Lm4ESD_iEENS6_INS7_ISA_SB_Lm3ESD_iEESH_SB_Lm4ESD_iEESI_T2_iiiiiiiiiiiiiii.private_seg_size, 0
	.set _ZN2at6native12_GLOBAL__N_132conv_depthwise2d_backward_kernelILi1ELi0EfiEEvN5torch10headeronly6detail27GenericPackedTensorAccessorINS5_14TensorAccessorIN3c108ArrayRefIlEEKT1_Lm3ENS4_16DefaultPtrTraitsEiEENS_6detail16IndexBoundsCheckILm4EiEESC_Lm4ESD_iEENS6_INS7_ISA_SB_Lm3ESD_iEESH_SB_Lm4ESD_iEESI_T2_iiiiiiiiiiiiiii.uses_vcc, 1
	.set _ZN2at6native12_GLOBAL__N_132conv_depthwise2d_backward_kernelILi1ELi0EfiEEvN5torch10headeronly6detail27GenericPackedTensorAccessorINS5_14TensorAccessorIN3c108ArrayRefIlEEKT1_Lm3ENS4_16DefaultPtrTraitsEiEENS_6detail16IndexBoundsCheckILm4EiEESC_Lm4ESD_iEENS6_INS7_ISA_SB_Lm3ESD_iEESH_SB_Lm4ESD_iEESI_T2_iiiiiiiiiiiiiii.uses_flat_scratch, 0
	.set _ZN2at6native12_GLOBAL__N_132conv_depthwise2d_backward_kernelILi1ELi0EfiEEvN5torch10headeronly6detail27GenericPackedTensorAccessorINS5_14TensorAccessorIN3c108ArrayRefIlEEKT1_Lm3ENS4_16DefaultPtrTraitsEiEENS_6detail16IndexBoundsCheckILm4EiEESC_Lm4ESD_iEENS6_INS7_ISA_SB_Lm3ESD_iEESH_SB_Lm4ESD_iEESI_T2_iiiiiiiiiiiiiii.has_dyn_sized_stack, 0
	.set _ZN2at6native12_GLOBAL__N_132conv_depthwise2d_backward_kernelILi1ELi0EfiEEvN5torch10headeronly6detail27GenericPackedTensorAccessorINS5_14TensorAccessorIN3c108ArrayRefIlEEKT1_Lm3ENS4_16DefaultPtrTraitsEiEENS_6detail16IndexBoundsCheckILm4EiEESC_Lm4ESD_iEENS6_INS7_ISA_SB_Lm3ESD_iEESH_SB_Lm4ESD_iEESI_T2_iiiiiiiiiiiiiii.has_recursion, 0
	.set _ZN2at6native12_GLOBAL__N_132conv_depthwise2d_backward_kernelILi1ELi0EfiEEvN5torch10headeronly6detail27GenericPackedTensorAccessorINS5_14TensorAccessorIN3c108ArrayRefIlEEKT1_Lm3ENS4_16DefaultPtrTraitsEiEENS_6detail16IndexBoundsCheckILm4EiEESC_Lm4ESD_iEENS6_INS7_ISA_SB_Lm3ESD_iEESH_SB_Lm4ESD_iEESI_T2_iiiiiiiiiiiiiii.has_indirect_call, 0
	.section	.AMDGPU.csdata,"",@progbits
; Kernel info:
; codeLenInByte = 1232
; TotalNumSgprs: 55
; NumVgprs: 18
; ScratchSize: 0
; MemoryBound: 0
; FloatMode: 240
; IeeeMode: 1
; LDSByteSize: 0 bytes/workgroup (compile time only)
; SGPRBlocks: 6
; VGPRBlocks: 4
; NumSGPRsForWavesPerEU: 55
; NumVGPRsForWavesPerEU: 18
; Occupancy: 10
; WaveLimiterHint : 0
; COMPUTE_PGM_RSRC2:SCRATCH_EN: 0
; COMPUTE_PGM_RSRC2:USER_SGPR: 6
; COMPUTE_PGM_RSRC2:TRAP_HANDLER: 0
; COMPUTE_PGM_RSRC2:TGID_X_EN: 1
; COMPUTE_PGM_RSRC2:TGID_Y_EN: 0
; COMPUTE_PGM_RSRC2:TGID_Z_EN: 0
; COMPUTE_PGM_RSRC2:TIDIG_COMP_CNT: 0
	.section	.text._ZN2at6native12_GLOBAL__N_132conv_depthwise2d_backward_kernelILi0ELi1EfiEEvN5torch10headeronly6detail27GenericPackedTensorAccessorINS5_14TensorAccessorIN3c108ArrayRefIlEEKT1_Lm3ENS4_16DefaultPtrTraitsEiEENS_6detail16IndexBoundsCheckILm4EiEESC_Lm4ESD_iEENS6_INS7_ISA_SB_Lm3ESD_iEESH_SB_Lm4ESD_iEESI_T2_iiiiiiiiiiiiiii,"axG",@progbits,_ZN2at6native12_GLOBAL__N_132conv_depthwise2d_backward_kernelILi0ELi1EfiEEvN5torch10headeronly6detail27GenericPackedTensorAccessorINS5_14TensorAccessorIN3c108ArrayRefIlEEKT1_Lm3ENS4_16DefaultPtrTraitsEiEENS_6detail16IndexBoundsCheckILm4EiEESC_Lm4ESD_iEENS6_INS7_ISA_SB_Lm3ESD_iEESH_SB_Lm4ESD_iEESI_T2_iiiiiiiiiiiiiii,comdat
	.globl	_ZN2at6native12_GLOBAL__N_132conv_depthwise2d_backward_kernelILi0ELi1EfiEEvN5torch10headeronly6detail27GenericPackedTensorAccessorINS5_14TensorAccessorIN3c108ArrayRefIlEEKT1_Lm3ENS4_16DefaultPtrTraitsEiEENS_6detail16IndexBoundsCheckILm4EiEESC_Lm4ESD_iEENS6_INS7_ISA_SB_Lm3ESD_iEESH_SB_Lm4ESD_iEESI_T2_iiiiiiiiiiiiiii ; -- Begin function _ZN2at6native12_GLOBAL__N_132conv_depthwise2d_backward_kernelILi0ELi1EfiEEvN5torch10headeronly6detail27GenericPackedTensorAccessorINS5_14TensorAccessorIN3c108ArrayRefIlEEKT1_Lm3ENS4_16DefaultPtrTraitsEiEENS_6detail16IndexBoundsCheckILm4EiEESC_Lm4ESD_iEENS6_INS7_ISA_SB_Lm3ESD_iEESH_SB_Lm4ESD_iEESI_T2_iiiiiiiiiiiiiii
	.p2align	8
	.type	_ZN2at6native12_GLOBAL__N_132conv_depthwise2d_backward_kernelILi0ELi1EfiEEvN5torch10headeronly6detail27GenericPackedTensorAccessorINS5_14TensorAccessorIN3c108ArrayRefIlEEKT1_Lm3ENS4_16DefaultPtrTraitsEiEENS_6detail16IndexBoundsCheckILm4EiEESC_Lm4ESD_iEENS6_INS7_ISA_SB_Lm3ESD_iEESH_SB_Lm4ESD_iEESI_T2_iiiiiiiiiiiiiii,@function
_ZN2at6native12_GLOBAL__N_132conv_depthwise2d_backward_kernelILi0ELi1EfiEEvN5torch10headeronly6detail27GenericPackedTensorAccessorINS5_14TensorAccessorIN3c108ArrayRefIlEEKT1_Lm3ENS4_16DefaultPtrTraitsEiEENS_6detail16IndexBoundsCheckILm4EiEESC_Lm4ESD_iEENS6_INS7_ISA_SB_Lm3ESD_iEESH_SB_Lm4ESD_iEESI_T2_iiiiiiiiiiiiiii: ; @_ZN2at6native12_GLOBAL__N_132conv_depthwise2d_backward_kernelILi0ELi1EfiEEvN5torch10headeronly6detail27GenericPackedTensorAccessorINS5_14TensorAccessorIN3c108ArrayRefIlEEKT1_Lm3ENS4_16DefaultPtrTraitsEiEENS_6detail16IndexBoundsCheckILm4EiEESC_Lm4ESD_iEENS6_INS7_ISA_SB_Lm3ESD_iEESH_SB_Lm4ESD_iEESI_T2_iiiiiiiiiiiiiii
; %bb.0:
	s_load_dword s2, s[4:5], 0xc4
	s_load_dwordx8 s[8:15], s[4:5], 0x78
	s_add_u32 s0, s4, 0xb8
	s_addc_u32 s1, s5, 0
	v_mov_b32_e32 v1, 0
	s_waitcnt lgkmcnt(0)
	s_and_b32 s2, s2, 0xffff
	v_mov_b32_e32 v2, s6
	v_mad_u64_u32 v[1:2], s[16:17], s2, v2, v[0:1]
	s_ashr_i32 s21, s8, 31
	s_mov_b32 s20, s8
	v_cmp_gt_i64_e32 vcc, s[20:21], v[1:2]
	s_and_saveexec_b64 s[16:17], vcc
	s_cbranch_execz .LBB37_17
; %bb.1:
	s_load_dwordx2 s[22:23], s[4:5], 0x98
	s_load_dwordx2 s[24:25], s[4:5], 0x50
	s_cmp_gt_i32 s10, 0
	s_cselect_b64 s[38:39], -1, 0
	s_load_dwordx2 s[30:31], s[4:5], 0x0
	s_load_dwordx2 s[34:35], s[4:5], 0x28
	s_waitcnt lgkmcnt(0)
	s_cmp_gt_i32 s23, 0
	s_cselect_b64 s[26:27], -1, 0
	s_cmp_gt_i32 s22, 0
	s_cselect_b64 s[28:29], -1, 0
	s_abs_i32 s8, s12
	v_cvt_f32_u32_e32 v3, s8
	s_abs_i32 s33, s13
	v_cvt_f32_u32_e32 v4, s33
	s_abs_i32 s40, s9
	v_rcp_iflag_f32_e32 v3, v3
	v_cvt_f32_u32_e32 v5, s40
	v_rcp_iflag_f32_e32 v4, v4
	s_load_dwordx4 s[16:19], s[4:5], 0xa8
	s_load_dword s3, s[0:1], 0x0
	v_mul_f32_e32 v3, 0x4f7ffffe, v3
	v_rcp_iflag_f32_e32 v5, v5
	v_cvt_u32_f32_e32 v3, v3
	v_mul_f32_e32 v4, 0x4f7ffffe, v4
	s_sub_i32 s0, 0, s8
	v_cvt_u32_f32_e32 v4, v4
	v_mul_f32_e32 v5, 0x4f7ffffe, v5
	v_mul_lo_u32 v6, s0, v3
	v_cvt_u32_f32_e32 v5, v5
	s_sub_i32 s0, 0, s33
	v_mul_lo_u32 v7, s0, v4
	s_sub_i32 s0, 0, s40
	v_mul_hi_u32 v6, v3, v6
	v_mul_lo_u32 v8, s0, v5
	v_mul_hi_u32 v7, v4, v7
	s_mul_i32 s0, s6, s2
	v_add_u32_e32 v6, v3, v6
	v_mul_hi_u32 v3, v5, v8
	s_waitcnt lgkmcnt(0)
	s_add_i32 s0, s0, s16
	s_mul_i32 s16, s23, s22
	s_mul_i32 s41, s3, s2
	v_add_u32_e32 v8, v5, v3
	v_cndmask_b32_e64 v3, 0, 1, s[38:39]
	s_ashr_i32 s42, s12, 31
	s_ashr_i32 s43, s13, 31
	v_add_u32_e32 v7, v4, v7
	s_ashr_i32 s44, s9, 31
	s_mul_i32 s45, s15, s14
	s_mul_i32 s46, s19, s14
	v_add_u32_e32 v0, s0, v0
	s_mul_i32 s47, s16, s10
	s_max_i32 s48, s22, 0
	s_mov_b64 s[36:37], 0
	v_cmp_ne_u32_e64 s[0:1], 1, v3
	s_branch .LBB37_4
.LBB37_2:                               ;   in Loop: Header=BB37_4 Depth=1
	v_mov_b32_e32 v9, 0
.LBB37_3:                               ;   in Loop: Header=BB37_4 Depth=1
	v_lshlrev_b64 v[3:4], 2, v[1:2]
	v_mov_b32_e32 v5, s35
	v_add_co_u32_e32 v3, vcc, s34, v3
	v_addc_co_u32_e32 v4, vcc, v5, v4, vcc
	v_add_co_u32_e32 v1, vcc, s41, v1
	v_addc_co_u32_e32 v2, vcc, 0, v2, vcc
	v_cmp_le_i64_e32 vcc, s[20:21], v[1:2]
	v_add_u32_e32 v0, s41, v0
	s_or_b64 s[36:37], vcc, s[36:37]
	global_store_dword v[3:4], v9, off
	s_andn2_b64 exec, exec, s[36:37]
	s_cbranch_execz .LBB37_17
.LBB37_4:                               ; =>This Loop Header: Depth=1
                                        ;     Child Loop BB37_7 Depth 2
                                        ;       Child Loop BB37_10 Depth 3
                                        ;         Child Loop BB37_14 Depth 4
	s_and_b64 vcc, exec, s[0:1]
	s_cbranch_vccnz .LBB37_2
; %bb.5:                                ;   in Loop: Header=BB37_4 Depth=1
	v_sub_u32_e32 v3, 0, v1
	v_max_i32_e32 v3, v1, v3
	v_mul_hi_u32 v4, v3, v6
	v_ashrrev_i32_e32 v9, 31, v1
	v_xor_b32_e32 v9, s42, v9
	s_mov_b32 s49, 0
	v_mul_lo_u32 v5, v4, s8
	v_add_u32_e32 v10, 1, v4
	v_sub_u32_e32 v3, v3, v5
	v_cmp_le_u32_e32 vcc, s8, v3
	v_subrev_u32_e32 v5, s8, v3
	v_cndmask_b32_e32 v4, v4, v10, vcc
	v_cndmask_b32_e32 v3, v3, v5, vcc
	v_add_u32_e32 v5, 1, v4
	v_cmp_le_u32_e32 vcc, s8, v3
	v_cndmask_b32_e32 v3, v4, v5, vcc
	v_xor_b32_e32 v5, v3, v9
	v_sub_u32_e32 v13, v5, v9
	v_sub_u32_e32 v3, 0, v13
	v_max_i32_e32 v3, v13, v3
	v_mul_hi_u32 v4, v3, v7
	v_ashrrev_i32_e32 v11, 31, v13
	v_xor_b32_e32 v11, s43, v11
	v_mul_lo_u32 v10, v4, s33
	v_add_u32_e32 v12, 1, v4
	v_sub_u32_e32 v3, v3, v10
	v_cmp_le_u32_e32 vcc, s33, v3
	v_subrev_u32_e32 v10, s33, v3
	v_cndmask_b32_e32 v4, v4, v12, vcc
	v_cndmask_b32_e32 v3, v3, v10, vcc
	v_add_u32_e32 v10, 1, v4
	v_cmp_le_u32_e32 vcc, s33, v3
	v_cndmask_b32_e32 v3, v4, v10, vcc
	v_xor_b32_e32 v3, v3, v11
	v_sub_u32_e32 v10, v3, v11
	v_sub_u32_e32 v3, 0, v10
	v_max_i32_e32 v3, v10, v3
	v_mul_hi_u32 v4, v3, v8
	v_ashrrev_i32_e32 v12, 31, v10
	v_xor_b32_e32 v12, s44, v12
	v_mul_lo_u32 v11, v4, s40
	v_add_u32_e32 v14, 1, v4
	v_sub_u32_e32 v3, v3, v11
	v_cmp_le_u32_e32 vcc, s40, v3
	v_subrev_u32_e32 v11, s40, v3
	v_cndmask_b32_e32 v4, v4, v14, vcc
	v_cndmask_b32_e32 v3, v3, v11, vcc
	v_add_u32_e32 v11, 1, v4
	v_cmp_le_u32_e32 vcc, s40, v3
	v_cndmask_b32_e32 v3, v4, v11, vcc
	v_xor_b32_e32 v3, v3, v12
	v_sub_u32_e32 v3, v3, v12
	v_mul_lo_u32 v4, v3, s9
	v_mul_lo_u32 v3, v3, s11
	v_sub_u32_e32 v12, v10, v4
	v_mad_u64_u32 v[3:4], s[2:3], v12, s10, v[3:4]
	v_mul_lo_u32 v10, s13, v10
	v_mul_lo_u32 v4, s12, v13
	;; [unrolled: 1-line block ×4, first 2 shown]
	v_add_u32_e32 v13, s17, v13
	v_sub_u32_e32 v14, v0, v4
	v_add3_u32 v3, s17, v5, v3
	v_sub_u32_e32 v3, v3, v10
	v_sub_u32_e32 v3, v3, v9
	v_mul_lo_u32 v11, s14, v3
	v_mov_b32_e32 v9, 0
	s_branch .LBB37_7
.LBB37_6:                               ;   in Loop: Header=BB37_7 Depth=2
	s_add_i32 s49, s49, 1
	v_add_u32_e32 v11, s45, v11
	s_cmp_eq_u32 s49, s10
	v_add_u32_e32 v12, s16, v12
	s_cbranch_scc1 .LBB37_3
.LBB37_7:                               ;   Parent Loop BB37_4 Depth=1
                                        ; =>  This Loop Header: Depth=2
                                        ;       Child Loop BB37_10 Depth 3
                                        ;         Child Loop BB37_14 Depth 4
	s_andn2_b64 vcc, exec, s[26:27]
	s_cbranch_vccnz .LBB37_6
; %bb.8:                                ;   in Loop: Header=BB37_7 Depth=2
	s_mov_b32 s50, 0
	v_mov_b32_e32 v3, v12
	v_mov_b32_e32 v15, v11
	s_branch .LBB37_10
.LBB37_9:                               ;   in Loop: Header=BB37_10 Depth=3
	s_add_i32 s50, s50, 1
	v_subrev_u32_e32 v15, s46, v15
	s_cmp_eq_u32 s50, s23
	v_add_u32_e32 v3, s48, v3
	s_cbranch_scc1 .LBB37_6
.LBB37_10:                              ;   Parent Loop BB37_4 Depth=1
                                        ;     Parent Loop BB37_7 Depth=2
                                        ; =>    This Loop Header: Depth=3
                                        ;         Child Loop BB37_14 Depth 4
	s_andn2_b64 vcc, exec, s[28:29]
	s_cbranch_vccnz .LBB37_9
; %bb.11:                               ;   in Loop: Header=BB37_10 Depth=3
	v_ashrrev_i32_e32 v4, 31, v3
	v_lshlrev_b64 v[4:5], 2, v[3:4]
	v_mov_b32_e32 v16, s25
	v_add_co_u32_e32 v4, vcc, s24, v4
	s_mul_i32 s2, s19, s50
	v_addc_co_u32_e32 v5, vcc, v16, v5, vcc
	v_add_u32_e32 v16, s2, v10
	v_sub_u32_e32 v16, v13, v16
	v_cmp_lt_i32_e32 vcc, -1, v16
	v_cmp_gt_i32_e64 s[2:3], s15, v16
	s_mov_b32 s51, s22
	v_mov_b32_e32 v16, v14
	s_branch .LBB37_14
.LBB37_12:                              ;   in Loop: Header=BB37_14 Depth=4
	s_or_b64 exec, exec, s[6:7]
.LBB37_13:                              ;   in Loop: Header=BB37_14 Depth=4
	s_or_b64 exec, exec, s[38:39]
	s_add_i32 s51, s51, -1
	v_add_co_u32_e64 v4, s[4:5], 4, v4
	v_subrev_u32_e32 v16, s18, v16
	s_cmp_eq_u32 s51, 0
	v_addc_co_u32_e64 v5, s[4:5], 0, v5, s[4:5]
	s_cbranch_scc1 .LBB37_9
.LBB37_14:                              ;   Parent Loop BB37_4 Depth=1
                                        ;     Parent Loop BB37_7 Depth=2
                                        ;       Parent Loop BB37_10 Depth=3
                                        ; =>      This Inner Loop Header: Depth=4
	s_and_saveexec_b64 s[38:39], vcc
	s_cbranch_execz .LBB37_13
; %bb.15:                               ;   in Loop: Header=BB37_14 Depth=4
	v_cmp_lt_i32_e64 s[4:5], -1, v16
	v_cmp_gt_i32_e64 s[6:7], s14, v16
	s_and_b64 s[4:5], s[4:5], s[6:7]
	s_and_b64 s[4:5], s[2:3], s[4:5]
	s_and_saveexec_b64 s[6:7], s[4:5]
	s_cbranch_execz .LBB37_12
; %bb.16:                               ;   in Loop: Header=BB37_14 Depth=4
	v_add_u32_e32 v17, v15, v16
	v_ashrrev_i32_e32 v18, 31, v17
	v_lshlrev_b64 v[17:18], 2, v[17:18]
	v_mov_b32_e32 v20, s31
	v_add_co_u32_e64 v17, s[4:5], s30, v17
	v_addc_co_u32_e64 v18, s[4:5], v20, v18, s[4:5]
	global_load_dword v19, v[4:5], off
	s_nop 0
	global_load_dword v17, v[17:18], off
	s_waitcnt vmcnt(0)
	v_fmac_f32_e32 v9, v19, v17
	s_branch .LBB37_12
.LBB37_17:
	s_endpgm
	.section	.rodata,"a",@progbits
	.p2align	6, 0x0
	.amdhsa_kernel _ZN2at6native12_GLOBAL__N_132conv_depthwise2d_backward_kernelILi0ELi1EfiEEvN5torch10headeronly6detail27GenericPackedTensorAccessorINS5_14TensorAccessorIN3c108ArrayRefIlEEKT1_Lm3ENS4_16DefaultPtrTraitsEiEENS_6detail16IndexBoundsCheckILm4EiEESC_Lm4ESD_iEENS6_INS7_ISA_SB_Lm3ESD_iEESH_SB_Lm4ESD_iEESI_T2_iiiiiiiiiiiiiii
		.amdhsa_group_segment_fixed_size 0
		.amdhsa_private_segment_fixed_size 0
		.amdhsa_kernarg_size 440
		.amdhsa_user_sgpr_count 6
		.amdhsa_user_sgpr_private_segment_buffer 1
		.amdhsa_user_sgpr_dispatch_ptr 0
		.amdhsa_user_sgpr_queue_ptr 0
		.amdhsa_user_sgpr_kernarg_segment_ptr 1
		.amdhsa_user_sgpr_dispatch_id 0
		.amdhsa_user_sgpr_flat_scratch_init 0
		.amdhsa_user_sgpr_private_segment_size 0
		.amdhsa_uses_dynamic_stack 0
		.amdhsa_system_sgpr_private_segment_wavefront_offset 0
		.amdhsa_system_sgpr_workgroup_id_x 1
		.amdhsa_system_sgpr_workgroup_id_y 0
		.amdhsa_system_sgpr_workgroup_id_z 0
		.amdhsa_system_sgpr_workgroup_info 0
		.amdhsa_system_vgpr_workitem_id 0
		.amdhsa_next_free_vgpr 21
		.amdhsa_next_free_sgpr 52
		.amdhsa_reserve_vcc 1
		.amdhsa_reserve_flat_scratch 0
		.amdhsa_float_round_mode_32 0
		.amdhsa_float_round_mode_16_64 0
		.amdhsa_float_denorm_mode_32 3
		.amdhsa_float_denorm_mode_16_64 3
		.amdhsa_dx10_clamp 1
		.amdhsa_ieee_mode 1
		.amdhsa_fp16_overflow 0
		.amdhsa_exception_fp_ieee_invalid_op 0
		.amdhsa_exception_fp_denorm_src 0
		.amdhsa_exception_fp_ieee_div_zero 0
		.amdhsa_exception_fp_ieee_overflow 0
		.amdhsa_exception_fp_ieee_underflow 0
		.amdhsa_exception_fp_ieee_inexact 0
		.amdhsa_exception_int_div_zero 0
	.end_amdhsa_kernel
	.section	.text._ZN2at6native12_GLOBAL__N_132conv_depthwise2d_backward_kernelILi0ELi1EfiEEvN5torch10headeronly6detail27GenericPackedTensorAccessorINS5_14TensorAccessorIN3c108ArrayRefIlEEKT1_Lm3ENS4_16DefaultPtrTraitsEiEENS_6detail16IndexBoundsCheckILm4EiEESC_Lm4ESD_iEENS6_INS7_ISA_SB_Lm3ESD_iEESH_SB_Lm4ESD_iEESI_T2_iiiiiiiiiiiiiii,"axG",@progbits,_ZN2at6native12_GLOBAL__N_132conv_depthwise2d_backward_kernelILi0ELi1EfiEEvN5torch10headeronly6detail27GenericPackedTensorAccessorINS5_14TensorAccessorIN3c108ArrayRefIlEEKT1_Lm3ENS4_16DefaultPtrTraitsEiEENS_6detail16IndexBoundsCheckILm4EiEESC_Lm4ESD_iEENS6_INS7_ISA_SB_Lm3ESD_iEESH_SB_Lm4ESD_iEESI_T2_iiiiiiiiiiiiiii,comdat
.Lfunc_end37:
	.size	_ZN2at6native12_GLOBAL__N_132conv_depthwise2d_backward_kernelILi0ELi1EfiEEvN5torch10headeronly6detail27GenericPackedTensorAccessorINS5_14TensorAccessorIN3c108ArrayRefIlEEKT1_Lm3ENS4_16DefaultPtrTraitsEiEENS_6detail16IndexBoundsCheckILm4EiEESC_Lm4ESD_iEENS6_INS7_ISA_SB_Lm3ESD_iEESH_SB_Lm4ESD_iEESI_T2_iiiiiiiiiiiiiii, .Lfunc_end37-_ZN2at6native12_GLOBAL__N_132conv_depthwise2d_backward_kernelILi0ELi1EfiEEvN5torch10headeronly6detail27GenericPackedTensorAccessorINS5_14TensorAccessorIN3c108ArrayRefIlEEKT1_Lm3ENS4_16DefaultPtrTraitsEiEENS_6detail16IndexBoundsCheckILm4EiEESC_Lm4ESD_iEENS6_INS7_ISA_SB_Lm3ESD_iEESH_SB_Lm4ESD_iEESI_T2_iiiiiiiiiiiiiii
                                        ; -- End function
	.set _ZN2at6native12_GLOBAL__N_132conv_depthwise2d_backward_kernelILi0ELi1EfiEEvN5torch10headeronly6detail27GenericPackedTensorAccessorINS5_14TensorAccessorIN3c108ArrayRefIlEEKT1_Lm3ENS4_16DefaultPtrTraitsEiEENS_6detail16IndexBoundsCheckILm4EiEESC_Lm4ESD_iEENS6_INS7_ISA_SB_Lm3ESD_iEESH_SB_Lm4ESD_iEESI_T2_iiiiiiiiiiiiiii.num_vgpr, 21
	.set _ZN2at6native12_GLOBAL__N_132conv_depthwise2d_backward_kernelILi0ELi1EfiEEvN5torch10headeronly6detail27GenericPackedTensorAccessorINS5_14TensorAccessorIN3c108ArrayRefIlEEKT1_Lm3ENS4_16DefaultPtrTraitsEiEENS_6detail16IndexBoundsCheckILm4EiEESC_Lm4ESD_iEENS6_INS7_ISA_SB_Lm3ESD_iEESH_SB_Lm4ESD_iEESI_T2_iiiiiiiiiiiiiii.num_agpr, 0
	.set _ZN2at6native12_GLOBAL__N_132conv_depthwise2d_backward_kernelILi0ELi1EfiEEvN5torch10headeronly6detail27GenericPackedTensorAccessorINS5_14TensorAccessorIN3c108ArrayRefIlEEKT1_Lm3ENS4_16DefaultPtrTraitsEiEENS_6detail16IndexBoundsCheckILm4EiEESC_Lm4ESD_iEENS6_INS7_ISA_SB_Lm3ESD_iEESH_SB_Lm4ESD_iEESI_T2_iiiiiiiiiiiiiii.numbered_sgpr, 52
	.set _ZN2at6native12_GLOBAL__N_132conv_depthwise2d_backward_kernelILi0ELi1EfiEEvN5torch10headeronly6detail27GenericPackedTensorAccessorINS5_14TensorAccessorIN3c108ArrayRefIlEEKT1_Lm3ENS4_16DefaultPtrTraitsEiEENS_6detail16IndexBoundsCheckILm4EiEESC_Lm4ESD_iEENS6_INS7_ISA_SB_Lm3ESD_iEESH_SB_Lm4ESD_iEESI_T2_iiiiiiiiiiiiiii.num_named_barrier, 0
	.set _ZN2at6native12_GLOBAL__N_132conv_depthwise2d_backward_kernelILi0ELi1EfiEEvN5torch10headeronly6detail27GenericPackedTensorAccessorINS5_14TensorAccessorIN3c108ArrayRefIlEEKT1_Lm3ENS4_16DefaultPtrTraitsEiEENS_6detail16IndexBoundsCheckILm4EiEESC_Lm4ESD_iEENS6_INS7_ISA_SB_Lm3ESD_iEESH_SB_Lm4ESD_iEESI_T2_iiiiiiiiiiiiiii.private_seg_size, 0
	.set _ZN2at6native12_GLOBAL__N_132conv_depthwise2d_backward_kernelILi0ELi1EfiEEvN5torch10headeronly6detail27GenericPackedTensorAccessorINS5_14TensorAccessorIN3c108ArrayRefIlEEKT1_Lm3ENS4_16DefaultPtrTraitsEiEENS_6detail16IndexBoundsCheckILm4EiEESC_Lm4ESD_iEENS6_INS7_ISA_SB_Lm3ESD_iEESH_SB_Lm4ESD_iEESI_T2_iiiiiiiiiiiiiii.uses_vcc, 1
	.set _ZN2at6native12_GLOBAL__N_132conv_depthwise2d_backward_kernelILi0ELi1EfiEEvN5torch10headeronly6detail27GenericPackedTensorAccessorINS5_14TensorAccessorIN3c108ArrayRefIlEEKT1_Lm3ENS4_16DefaultPtrTraitsEiEENS_6detail16IndexBoundsCheckILm4EiEESC_Lm4ESD_iEENS6_INS7_ISA_SB_Lm3ESD_iEESH_SB_Lm4ESD_iEESI_T2_iiiiiiiiiiiiiii.uses_flat_scratch, 0
	.set _ZN2at6native12_GLOBAL__N_132conv_depthwise2d_backward_kernelILi0ELi1EfiEEvN5torch10headeronly6detail27GenericPackedTensorAccessorINS5_14TensorAccessorIN3c108ArrayRefIlEEKT1_Lm3ENS4_16DefaultPtrTraitsEiEENS_6detail16IndexBoundsCheckILm4EiEESC_Lm4ESD_iEENS6_INS7_ISA_SB_Lm3ESD_iEESH_SB_Lm4ESD_iEESI_T2_iiiiiiiiiiiiiii.has_dyn_sized_stack, 0
	.set _ZN2at6native12_GLOBAL__N_132conv_depthwise2d_backward_kernelILi0ELi1EfiEEvN5torch10headeronly6detail27GenericPackedTensorAccessorINS5_14TensorAccessorIN3c108ArrayRefIlEEKT1_Lm3ENS4_16DefaultPtrTraitsEiEENS_6detail16IndexBoundsCheckILm4EiEESC_Lm4ESD_iEENS6_INS7_ISA_SB_Lm3ESD_iEESH_SB_Lm4ESD_iEESI_T2_iiiiiiiiiiiiiii.has_recursion, 0
	.set _ZN2at6native12_GLOBAL__N_132conv_depthwise2d_backward_kernelILi0ELi1EfiEEvN5torch10headeronly6detail27GenericPackedTensorAccessorINS5_14TensorAccessorIN3c108ArrayRefIlEEKT1_Lm3ENS4_16DefaultPtrTraitsEiEENS_6detail16IndexBoundsCheckILm4EiEESC_Lm4ESD_iEENS6_INS7_ISA_SB_Lm3ESD_iEESH_SB_Lm4ESD_iEESI_T2_iiiiiiiiiiiiiii.has_indirect_call, 0
	.section	.AMDGPU.csdata,"",@progbits
; Kernel info:
; codeLenInByte = 1056
; TotalNumSgprs: 56
; NumVgprs: 21
; ScratchSize: 0
; MemoryBound: 0
; FloatMode: 240
; IeeeMode: 1
; LDSByteSize: 0 bytes/workgroup (compile time only)
; SGPRBlocks: 6
; VGPRBlocks: 5
; NumSGPRsForWavesPerEU: 56
; NumVGPRsForWavesPerEU: 21
; Occupancy: 10
; WaveLimiterHint : 0
; COMPUTE_PGM_RSRC2:SCRATCH_EN: 0
; COMPUTE_PGM_RSRC2:USER_SGPR: 6
; COMPUTE_PGM_RSRC2:TRAP_HANDLER: 0
; COMPUTE_PGM_RSRC2:TGID_X_EN: 1
; COMPUTE_PGM_RSRC2:TGID_Y_EN: 0
; COMPUTE_PGM_RSRC2:TGID_Z_EN: 0
; COMPUTE_PGM_RSRC2:TIDIG_COMP_CNT: 0
	.section	.text._ZN2at6native12_GLOBAL__N_132conv_depthwise2d_backward_kernelILi0ELi2EfiEEvN5torch10headeronly6detail27GenericPackedTensorAccessorINS5_14TensorAccessorIN3c108ArrayRefIlEEKT1_Lm3ENS4_16DefaultPtrTraitsEiEENS_6detail16IndexBoundsCheckILm4EiEESC_Lm4ESD_iEENS6_INS7_ISA_SB_Lm3ESD_iEESH_SB_Lm4ESD_iEESI_T2_iiiiiiiiiiiiiii,"axG",@progbits,_ZN2at6native12_GLOBAL__N_132conv_depthwise2d_backward_kernelILi0ELi2EfiEEvN5torch10headeronly6detail27GenericPackedTensorAccessorINS5_14TensorAccessorIN3c108ArrayRefIlEEKT1_Lm3ENS4_16DefaultPtrTraitsEiEENS_6detail16IndexBoundsCheckILm4EiEESC_Lm4ESD_iEENS6_INS7_ISA_SB_Lm3ESD_iEESH_SB_Lm4ESD_iEESI_T2_iiiiiiiiiiiiiii,comdat
	.globl	_ZN2at6native12_GLOBAL__N_132conv_depthwise2d_backward_kernelILi0ELi2EfiEEvN5torch10headeronly6detail27GenericPackedTensorAccessorINS5_14TensorAccessorIN3c108ArrayRefIlEEKT1_Lm3ENS4_16DefaultPtrTraitsEiEENS_6detail16IndexBoundsCheckILm4EiEESC_Lm4ESD_iEENS6_INS7_ISA_SB_Lm3ESD_iEESH_SB_Lm4ESD_iEESI_T2_iiiiiiiiiiiiiii ; -- Begin function _ZN2at6native12_GLOBAL__N_132conv_depthwise2d_backward_kernelILi0ELi2EfiEEvN5torch10headeronly6detail27GenericPackedTensorAccessorINS5_14TensorAccessorIN3c108ArrayRefIlEEKT1_Lm3ENS4_16DefaultPtrTraitsEiEENS_6detail16IndexBoundsCheckILm4EiEESC_Lm4ESD_iEENS6_INS7_ISA_SB_Lm3ESD_iEESH_SB_Lm4ESD_iEESI_T2_iiiiiiiiiiiiiii
	.p2align	8
	.type	_ZN2at6native12_GLOBAL__N_132conv_depthwise2d_backward_kernelILi0ELi2EfiEEvN5torch10headeronly6detail27GenericPackedTensorAccessorINS5_14TensorAccessorIN3c108ArrayRefIlEEKT1_Lm3ENS4_16DefaultPtrTraitsEiEENS_6detail16IndexBoundsCheckILm4EiEESC_Lm4ESD_iEENS6_INS7_ISA_SB_Lm3ESD_iEESH_SB_Lm4ESD_iEESI_T2_iiiiiiiiiiiiiii,@function
_ZN2at6native12_GLOBAL__N_132conv_depthwise2d_backward_kernelILi0ELi2EfiEEvN5torch10headeronly6detail27GenericPackedTensorAccessorINS5_14TensorAccessorIN3c108ArrayRefIlEEKT1_Lm3ENS4_16DefaultPtrTraitsEiEENS_6detail16IndexBoundsCheckILm4EiEESC_Lm4ESD_iEENS6_INS7_ISA_SB_Lm3ESD_iEESH_SB_Lm4ESD_iEESI_T2_iiiiiiiiiiiiiii: ; @_ZN2at6native12_GLOBAL__N_132conv_depthwise2d_backward_kernelILi0ELi2EfiEEvN5torch10headeronly6detail27GenericPackedTensorAccessorINS5_14TensorAccessorIN3c108ArrayRefIlEEKT1_Lm3ENS4_16DefaultPtrTraitsEiEENS_6detail16IndexBoundsCheckILm4EiEESC_Lm4ESD_iEENS6_INS7_ISA_SB_Lm3ESD_iEESH_SB_Lm4ESD_iEESI_T2_iiiiiiiiiiiiiii
; %bb.0:
	s_load_dword s2, s[4:5], 0xc4
	s_load_dwordx8 s[12:19], s[4:5], 0x78
	s_add_u32 s0, s4, 0xb8
	s_addc_u32 s1, s5, 0
	v_mov_b32_e32 v1, 0
	s_waitcnt lgkmcnt(0)
	s_and_b32 s2, s2, 0xffff
	v_mov_b32_e32 v2, s6
	v_mad_u64_u32 v[1:2], s[8:9], s2, v2, v[0:1]
	s_ashr_i32 s11, s12, 31
	s_mov_b32 s10, s12
	v_cmp_gt_i64_e32 vcc, s[10:11], v[1:2]
	s_and_saveexec_b64 s[8:9], vcc
	s_cbranch_execz .LBB38_19
; %bb.1:
	s_load_dwordx2 s[24:25], s[4:5], 0x98
	s_load_dwordx2 s[26:27], s[4:5], 0x50
	s_cmp_gt_i32 s14, 0
	s_cselect_b64 s[8:9], -1, 0
	s_load_dwordx2 s[34:35], s[4:5], 0x0
	s_load_dwordx2 s[36:37], s[4:5], 0x28
	s_waitcnt lgkmcnt(0)
	s_cmp_gt_i32 s25, 0
	s_cselect_b64 s[28:29], -1, 0
	s_cmp_gt_i32 s24, 0
	s_cselect_b64 s[30:31], -1, 0
	s_abs_i32 s12, s16
	v_cvt_f32_u32_e32 v3, s12
	s_abs_i32 s33, s17
	v_cvt_f32_u32_e32 v4, s33
	s_abs_i32 s44, s13
	v_rcp_iflag_f32_e32 v3, v3
	v_cvt_f32_u32_e32 v5, s44
	v_rcp_iflag_f32_e32 v4, v4
	s_load_dwordx4 s[20:23], s[4:5], 0xa8
	s_load_dword s3, s[0:1], 0x0
	v_mul_f32_e32 v3, 0x4f7ffffe, v3
	v_rcp_iflag_f32_e32 v5, v5
	v_cvt_u32_f32_e32 v3, v3
	v_mul_f32_e32 v4, 0x4f7ffffe, v4
	s_sub_i32 s0, 0, s12
	v_cvt_u32_f32_e32 v4, v4
	v_mul_f32_e32 v5, 0x4f7ffffe, v5
	v_mul_lo_u32 v6, s0, v3
	v_cvt_u32_f32_e32 v5, v5
	s_sub_i32 s0, 0, s33
	v_mul_lo_u32 v7, s0, v4
	s_sub_i32 s0, 0, s44
	v_mul_hi_u32 v6, v3, v6
	v_mul_lo_u32 v8, s0, v5
	v_mul_hi_u32 v7, v4, v7
	s_mul_i32 s0, s6, s2
	v_add_u32_e32 v6, v3, v6
	v_mul_hi_u32 v3, v5, v8
	s_waitcnt lgkmcnt(0)
	s_add_i32 s0, s0, s20
	s_mul_i32 s20, s25, s24
	s_mul_i32 s45, s3, s2
	v_add_u32_e32 v8, v5, v3
	v_cndmask_b32_e64 v3, 0, 1, s[8:9]
	s_ashr_i32 s46, s16, 31
	s_ashr_i32 s47, s17, 31
	v_add_u32_e32 v7, v4, v7
	s_ashr_i32 s48, s13, 31
	v_add_u32_e32 v0, s0, v0
	s_mul_i32 s49, s20, s14
	s_max_i32 s50, s24, 0
	s_mov_b64 s[38:39], 0
	v_cmp_ne_u32_e64 s[0:1], 1, v3
	s_branch .LBB38_4
.LBB38_2:                               ;   in Loop: Header=BB38_4 Depth=1
	v_mov_b32_e32 v9, 0
.LBB38_3:                               ;   in Loop: Header=BB38_4 Depth=1
	v_lshlrev_b64 v[3:4], 2, v[1:2]
	v_mov_b32_e32 v5, s37
	v_add_co_u32_e32 v3, vcc, s36, v3
	v_addc_co_u32_e32 v4, vcc, v5, v4, vcc
	v_add_co_u32_e32 v1, vcc, s45, v1
	v_addc_co_u32_e32 v2, vcc, 0, v2, vcc
	v_cmp_le_i64_e32 vcc, s[10:11], v[1:2]
	v_add_u32_e32 v0, s45, v0
	s_or_b64 s[38:39], vcc, s[38:39]
	global_store_dword v[3:4], v9, off
	s_andn2_b64 exec, exec, s[38:39]
	s_cbranch_execz .LBB38_19
.LBB38_4:                               ; =>This Loop Header: Depth=1
                                        ;     Child Loop BB38_7 Depth 2
                                        ;       Child Loop BB38_10 Depth 3
                                        ;         Child Loop BB38_15 Depth 4
	s_and_b64 vcc, exec, s[0:1]
	s_cbranch_vccnz .LBB38_2
; %bb.5:                                ;   in Loop: Header=BB38_4 Depth=1
	v_sub_u32_e32 v3, 0, v1
	v_max_i32_e32 v3, v1, v3
	v_mul_hi_u32 v4, v3, v6
	v_ashrrev_i32_e32 v9, 31, v1
	v_xor_b32_e32 v9, s46, v9
	s_mov_b32 s51, 0
	v_mul_lo_u32 v5, v4, s12
	v_add_u32_e32 v10, 1, v4
	v_sub_u32_e32 v3, v3, v5
	v_cmp_le_u32_e32 vcc, s12, v3
	v_subrev_u32_e32 v5, s12, v3
	v_cndmask_b32_e32 v4, v4, v10, vcc
	v_cndmask_b32_e32 v3, v3, v5, vcc
	v_add_u32_e32 v5, 1, v4
	v_cmp_le_u32_e32 vcc, s12, v3
	v_cndmask_b32_e32 v3, v4, v5, vcc
	v_xor_b32_e32 v3, v3, v9
	v_sub_u32_e32 v3, v3, v9
	v_sub_u32_e32 v4, 0, v3
	v_max_i32_e32 v4, v3, v4
	v_mul_hi_u32 v5, v4, v7
	v_ashrrev_i32_e32 v10, 31, v3
	v_xor_b32_e32 v10, s47, v10
	v_mul_lo_u32 v15, s16, v3
	v_mul_lo_u32 v9, v5, s33
	v_add_u32_e32 v11, 1, v5
	v_add_u32_e32 v14, s21, v3
	v_sub_u32_e32 v15, v0, v15
	v_sub_u32_e32 v4, v4, v9
	v_cmp_le_u32_e32 vcc, s33, v4
	v_subrev_u32_e32 v9, s33, v4
	v_cndmask_b32_e32 v5, v5, v11, vcc
	v_cndmask_b32_e32 v4, v4, v9, vcc
	v_add_u32_e32 v9, 1, v5
	v_cmp_le_u32_e32 vcc, s33, v4
	v_cndmask_b32_e32 v4, v5, v9, vcc
	v_xor_b32_e32 v4, v4, v10
	v_sub_u32_e32 v4, v4, v10
	v_sub_u32_e32 v5, 0, v4
	v_max_i32_e32 v5, v4, v5
	v_mul_hi_u32 v9, v5, v8
	v_ashrrev_i32_e32 v11, 31, v4
	v_xor_b32_e32 v11, s48, v11
	v_mul_lo_u32 v10, v9, s44
	v_add_u32_e32 v12, 1, v9
	v_sub_u32_e32 v5, v5, v10
	v_cmp_le_u32_e32 vcc, s44, v5
	v_subrev_u32_e32 v10, s44, v5
	v_cndmask_b32_e32 v9, v9, v12, vcc
	v_cndmask_b32_e32 v5, v5, v10, vcc
	v_add_u32_e32 v10, 1, v9
	v_cmp_le_u32_e32 vcc, s44, v5
	v_cndmask_b32_e32 v5, v9, v10, vcc
	v_xor_b32_e32 v5, v5, v11
	v_sub_u32_e32 v5, v5, v11
	v_mul_lo_u32 v9, v5, s13
	v_mul_lo_u32 v10, s17, v4
	;; [unrolled: 1-line block ×3, first 2 shown]
	v_sub_u32_e32 v4, v4, v9
	v_mul_lo_u32 v11, v4, s14
	v_mul_lo_u32 v13, s49, v4
	v_mov_b32_e32 v9, 0
	s_branch .LBB38_7
.LBB38_6:                               ;   in Loop: Header=BB38_7 Depth=2
	s_add_i32 s51, s51, 1
	s_cmp_eq_u32 s51, s14
	v_add_u32_e32 v13, s20, v13
	s_cbranch_scc1 .LBB38_3
.LBB38_7:                               ;   Parent Loop BB38_4 Depth=1
                                        ; =>  This Loop Header: Depth=2
                                        ;       Child Loop BB38_10 Depth 3
                                        ;         Child Loop BB38_15 Depth 4
	s_andn2_b64 vcc, exec, s[28:29]
	s_cbranch_vccnz .LBB38_6
; %bb.8:                                ;   in Loop: Header=BB38_7 Depth=2
	v_add3_u32 v3, s51, v11, v12
	v_mul_lo_u32 v16, v3, s19
	s_mov_b32 s52, 0
	v_mov_b32_e32 v3, v13
	s_branch .LBB38_10
.LBB38_9:                               ;   in Loop: Header=BB38_10 Depth=3
	s_add_i32 s52, s52, 1
	s_cmp_eq_u32 s52, s25
	v_add_u32_e32 v3, s50, v3
	s_cbranch_scc1 .LBB38_6
.LBB38_10:                              ;   Parent Loop BB38_4 Depth=1
                                        ;     Parent Loop BB38_7 Depth=2
                                        ; =>    This Loop Header: Depth=3
                                        ;         Child Loop BB38_15 Depth 4
	s_andn2_b64 vcc, exec, s[30:31]
	s_cbranch_vccnz .LBB38_9
; %bb.11:                               ;   in Loop: Header=BB38_10 Depth=3
	v_ashrrev_i32_e32 v4, 31, v3
	v_lshlrev_b64 v[4:5], 2, v[3:4]
	v_mov_b32_e32 v17, s27
	v_add_co_u32_e32 v4, vcc, s26, v4
	s_mul_i32 s2, s23, s52
	v_addc_co_u32_e32 v5, vcc, v17, v5, vcc
	v_add_u32_e32 v17, s2, v10
	v_sub_u32_e32 v17, v14, v17
	v_and_b32_e32 v18, 1, v17
	v_cmp_eq_u32_e32 vcc, 0, v18
	v_ashrrev_i32_e32 v18, 1, v17
	v_add_u32_e32 v17, v18, v16
	v_mul_lo_u32 v17, v17, s18
	v_cmp_lt_i32_e64 s[2:3], -1, v18
	v_cmp_gt_i32_e64 s[4:5], s19, v18
	s_mov_b32 s53, s24
	v_mov_b32_e32 v18, v15
	s_branch .LBB38_15
.LBB38_12:                              ;   in Loop: Header=BB38_15 Depth=4
	s_or_b64 exec, exec, s[8:9]
.LBB38_13:                              ;   in Loop: Header=BB38_15 Depth=4
	s_or_b64 exec, exec, s[42:43]
.LBB38_14:                              ;   in Loop: Header=BB38_15 Depth=4
	s_or_b64 exec, exec, s[40:41]
	s_add_i32 s53, s53, -1
	v_add_co_u32_e64 v4, s[6:7], 4, v4
	v_subrev_u32_e32 v18, s22, v18
	s_cmp_eq_u32 s53, 0
	v_addc_co_u32_e64 v5, s[6:7], 0, v5, s[6:7]
	s_cbranch_scc1 .LBB38_9
.LBB38_15:                              ;   Parent Loop BB38_4 Depth=1
                                        ;     Parent Loop BB38_7 Depth=2
                                        ;       Parent Loop BB38_10 Depth=3
                                        ; =>      This Inner Loop Header: Depth=4
	v_and_b32_e32 v19, 1, v18
	v_cmp_eq_u32_e64 s[6:7], 0, v19
	s_and_b64 s[6:7], vcc, s[6:7]
	s_and_saveexec_b64 s[40:41], s[6:7]
	s_cbranch_execz .LBB38_14
; %bb.16:                               ;   in Loop: Header=BB38_15 Depth=4
	s_and_saveexec_b64 s[42:43], s[2:3]
	s_cbranch_execz .LBB38_13
; %bb.17:                               ;   in Loop: Header=BB38_15 Depth=4
	v_ashrrev_i32_e32 v19, 1, v18
	v_cmp_lt_i32_e64 s[6:7], -1, v19
	v_cmp_gt_i32_e64 s[8:9], s18, v19
	s_and_b64 s[6:7], s[6:7], s[8:9]
	s_and_b64 s[6:7], s[4:5], s[6:7]
	s_and_saveexec_b64 s[8:9], s[6:7]
	s_cbranch_execz .LBB38_12
; %bb.18:                               ;   in Loop: Header=BB38_15 Depth=4
	v_add_u32_e32 v19, v19, v17
	v_ashrrev_i32_e32 v20, 31, v19
	v_lshlrev_b64 v[19:20], 2, v[19:20]
	v_mov_b32_e32 v22, s35
	v_add_co_u32_e64 v19, s[6:7], s34, v19
	v_addc_co_u32_e64 v20, s[6:7], v22, v20, s[6:7]
	global_load_dword v21, v[4:5], off
	s_nop 0
	global_load_dword v19, v[19:20], off
	s_waitcnt vmcnt(0)
	v_fmac_f32_e32 v9, v21, v19
	s_branch .LBB38_12
.LBB38_19:
	s_endpgm
	.section	.rodata,"a",@progbits
	.p2align	6, 0x0
	.amdhsa_kernel _ZN2at6native12_GLOBAL__N_132conv_depthwise2d_backward_kernelILi0ELi2EfiEEvN5torch10headeronly6detail27GenericPackedTensorAccessorINS5_14TensorAccessorIN3c108ArrayRefIlEEKT1_Lm3ENS4_16DefaultPtrTraitsEiEENS_6detail16IndexBoundsCheckILm4EiEESC_Lm4ESD_iEENS6_INS7_ISA_SB_Lm3ESD_iEESH_SB_Lm4ESD_iEESI_T2_iiiiiiiiiiiiiii
		.amdhsa_group_segment_fixed_size 0
		.amdhsa_private_segment_fixed_size 0
		.amdhsa_kernarg_size 440
		.amdhsa_user_sgpr_count 6
		.amdhsa_user_sgpr_private_segment_buffer 1
		.amdhsa_user_sgpr_dispatch_ptr 0
		.amdhsa_user_sgpr_queue_ptr 0
		.amdhsa_user_sgpr_kernarg_segment_ptr 1
		.amdhsa_user_sgpr_dispatch_id 0
		.amdhsa_user_sgpr_flat_scratch_init 0
		.amdhsa_user_sgpr_private_segment_size 0
		.amdhsa_uses_dynamic_stack 0
		.amdhsa_system_sgpr_private_segment_wavefront_offset 0
		.amdhsa_system_sgpr_workgroup_id_x 1
		.amdhsa_system_sgpr_workgroup_id_y 0
		.amdhsa_system_sgpr_workgroup_id_z 0
		.amdhsa_system_sgpr_workgroup_info 0
		.amdhsa_system_vgpr_workitem_id 0
		.amdhsa_next_free_vgpr 23
		.amdhsa_next_free_sgpr 54
		.amdhsa_reserve_vcc 1
		.amdhsa_reserve_flat_scratch 0
		.amdhsa_float_round_mode_32 0
		.amdhsa_float_round_mode_16_64 0
		.amdhsa_float_denorm_mode_32 3
		.amdhsa_float_denorm_mode_16_64 3
		.amdhsa_dx10_clamp 1
		.amdhsa_ieee_mode 1
		.amdhsa_fp16_overflow 0
		.amdhsa_exception_fp_ieee_invalid_op 0
		.amdhsa_exception_fp_denorm_src 0
		.amdhsa_exception_fp_ieee_div_zero 0
		.amdhsa_exception_fp_ieee_overflow 0
		.amdhsa_exception_fp_ieee_underflow 0
		.amdhsa_exception_fp_ieee_inexact 0
		.amdhsa_exception_int_div_zero 0
	.end_amdhsa_kernel
	.section	.text._ZN2at6native12_GLOBAL__N_132conv_depthwise2d_backward_kernelILi0ELi2EfiEEvN5torch10headeronly6detail27GenericPackedTensorAccessorINS5_14TensorAccessorIN3c108ArrayRefIlEEKT1_Lm3ENS4_16DefaultPtrTraitsEiEENS_6detail16IndexBoundsCheckILm4EiEESC_Lm4ESD_iEENS6_INS7_ISA_SB_Lm3ESD_iEESH_SB_Lm4ESD_iEESI_T2_iiiiiiiiiiiiiii,"axG",@progbits,_ZN2at6native12_GLOBAL__N_132conv_depthwise2d_backward_kernelILi0ELi2EfiEEvN5torch10headeronly6detail27GenericPackedTensorAccessorINS5_14TensorAccessorIN3c108ArrayRefIlEEKT1_Lm3ENS4_16DefaultPtrTraitsEiEENS_6detail16IndexBoundsCheckILm4EiEESC_Lm4ESD_iEENS6_INS7_ISA_SB_Lm3ESD_iEESH_SB_Lm4ESD_iEESI_T2_iiiiiiiiiiiiiii,comdat
.Lfunc_end38:
	.size	_ZN2at6native12_GLOBAL__N_132conv_depthwise2d_backward_kernelILi0ELi2EfiEEvN5torch10headeronly6detail27GenericPackedTensorAccessorINS5_14TensorAccessorIN3c108ArrayRefIlEEKT1_Lm3ENS4_16DefaultPtrTraitsEiEENS_6detail16IndexBoundsCheckILm4EiEESC_Lm4ESD_iEENS6_INS7_ISA_SB_Lm3ESD_iEESH_SB_Lm4ESD_iEESI_T2_iiiiiiiiiiiiiii, .Lfunc_end38-_ZN2at6native12_GLOBAL__N_132conv_depthwise2d_backward_kernelILi0ELi2EfiEEvN5torch10headeronly6detail27GenericPackedTensorAccessorINS5_14TensorAccessorIN3c108ArrayRefIlEEKT1_Lm3ENS4_16DefaultPtrTraitsEiEENS_6detail16IndexBoundsCheckILm4EiEESC_Lm4ESD_iEENS6_INS7_ISA_SB_Lm3ESD_iEESH_SB_Lm4ESD_iEESI_T2_iiiiiiiiiiiiiii
                                        ; -- End function
	.set _ZN2at6native12_GLOBAL__N_132conv_depthwise2d_backward_kernelILi0ELi2EfiEEvN5torch10headeronly6detail27GenericPackedTensorAccessorINS5_14TensorAccessorIN3c108ArrayRefIlEEKT1_Lm3ENS4_16DefaultPtrTraitsEiEENS_6detail16IndexBoundsCheckILm4EiEESC_Lm4ESD_iEENS6_INS7_ISA_SB_Lm3ESD_iEESH_SB_Lm4ESD_iEESI_T2_iiiiiiiiiiiiiii.num_vgpr, 23
	.set _ZN2at6native12_GLOBAL__N_132conv_depthwise2d_backward_kernelILi0ELi2EfiEEvN5torch10headeronly6detail27GenericPackedTensorAccessorINS5_14TensorAccessorIN3c108ArrayRefIlEEKT1_Lm3ENS4_16DefaultPtrTraitsEiEENS_6detail16IndexBoundsCheckILm4EiEESC_Lm4ESD_iEENS6_INS7_ISA_SB_Lm3ESD_iEESH_SB_Lm4ESD_iEESI_T2_iiiiiiiiiiiiiii.num_agpr, 0
	.set _ZN2at6native12_GLOBAL__N_132conv_depthwise2d_backward_kernelILi0ELi2EfiEEvN5torch10headeronly6detail27GenericPackedTensorAccessorINS5_14TensorAccessorIN3c108ArrayRefIlEEKT1_Lm3ENS4_16DefaultPtrTraitsEiEENS_6detail16IndexBoundsCheckILm4EiEESC_Lm4ESD_iEENS6_INS7_ISA_SB_Lm3ESD_iEESH_SB_Lm4ESD_iEESI_T2_iiiiiiiiiiiiiii.numbered_sgpr, 54
	.set _ZN2at6native12_GLOBAL__N_132conv_depthwise2d_backward_kernelILi0ELi2EfiEEvN5torch10headeronly6detail27GenericPackedTensorAccessorINS5_14TensorAccessorIN3c108ArrayRefIlEEKT1_Lm3ENS4_16DefaultPtrTraitsEiEENS_6detail16IndexBoundsCheckILm4EiEESC_Lm4ESD_iEENS6_INS7_ISA_SB_Lm3ESD_iEESH_SB_Lm4ESD_iEESI_T2_iiiiiiiiiiiiiii.num_named_barrier, 0
	.set _ZN2at6native12_GLOBAL__N_132conv_depthwise2d_backward_kernelILi0ELi2EfiEEvN5torch10headeronly6detail27GenericPackedTensorAccessorINS5_14TensorAccessorIN3c108ArrayRefIlEEKT1_Lm3ENS4_16DefaultPtrTraitsEiEENS_6detail16IndexBoundsCheckILm4EiEESC_Lm4ESD_iEENS6_INS7_ISA_SB_Lm3ESD_iEESH_SB_Lm4ESD_iEESI_T2_iiiiiiiiiiiiiii.private_seg_size, 0
	.set _ZN2at6native12_GLOBAL__N_132conv_depthwise2d_backward_kernelILi0ELi2EfiEEvN5torch10headeronly6detail27GenericPackedTensorAccessorINS5_14TensorAccessorIN3c108ArrayRefIlEEKT1_Lm3ENS4_16DefaultPtrTraitsEiEENS_6detail16IndexBoundsCheckILm4EiEESC_Lm4ESD_iEENS6_INS7_ISA_SB_Lm3ESD_iEESH_SB_Lm4ESD_iEESI_T2_iiiiiiiiiiiiiii.uses_vcc, 1
	.set _ZN2at6native12_GLOBAL__N_132conv_depthwise2d_backward_kernelILi0ELi2EfiEEvN5torch10headeronly6detail27GenericPackedTensorAccessorINS5_14TensorAccessorIN3c108ArrayRefIlEEKT1_Lm3ENS4_16DefaultPtrTraitsEiEENS_6detail16IndexBoundsCheckILm4EiEESC_Lm4ESD_iEENS6_INS7_ISA_SB_Lm3ESD_iEESH_SB_Lm4ESD_iEESI_T2_iiiiiiiiiiiiiii.uses_flat_scratch, 0
	.set _ZN2at6native12_GLOBAL__N_132conv_depthwise2d_backward_kernelILi0ELi2EfiEEvN5torch10headeronly6detail27GenericPackedTensorAccessorINS5_14TensorAccessorIN3c108ArrayRefIlEEKT1_Lm3ENS4_16DefaultPtrTraitsEiEENS_6detail16IndexBoundsCheckILm4EiEESC_Lm4ESD_iEENS6_INS7_ISA_SB_Lm3ESD_iEESH_SB_Lm4ESD_iEESI_T2_iiiiiiiiiiiiiii.has_dyn_sized_stack, 0
	.set _ZN2at6native12_GLOBAL__N_132conv_depthwise2d_backward_kernelILi0ELi2EfiEEvN5torch10headeronly6detail27GenericPackedTensorAccessorINS5_14TensorAccessorIN3c108ArrayRefIlEEKT1_Lm3ENS4_16DefaultPtrTraitsEiEENS_6detail16IndexBoundsCheckILm4EiEESC_Lm4ESD_iEENS6_INS7_ISA_SB_Lm3ESD_iEESH_SB_Lm4ESD_iEESI_T2_iiiiiiiiiiiiiii.has_recursion, 0
	.set _ZN2at6native12_GLOBAL__N_132conv_depthwise2d_backward_kernelILi0ELi2EfiEEvN5torch10headeronly6detail27GenericPackedTensorAccessorINS5_14TensorAccessorIN3c108ArrayRefIlEEKT1_Lm3ENS4_16DefaultPtrTraitsEiEENS_6detail16IndexBoundsCheckILm4EiEESC_Lm4ESD_iEENS6_INS7_ISA_SB_Lm3ESD_iEESH_SB_Lm4ESD_iEESI_T2_iiiiiiiiiiiiiii.has_indirect_call, 0
	.section	.AMDGPU.csdata,"",@progbits
; Kernel info:
; codeLenInByte = 1080
; TotalNumSgprs: 58
; NumVgprs: 23
; ScratchSize: 0
; MemoryBound: 0
; FloatMode: 240
; IeeeMode: 1
; LDSByteSize: 0 bytes/workgroup (compile time only)
; SGPRBlocks: 7
; VGPRBlocks: 5
; NumSGPRsForWavesPerEU: 58
; NumVGPRsForWavesPerEU: 23
; Occupancy: 10
; WaveLimiterHint : 0
; COMPUTE_PGM_RSRC2:SCRATCH_EN: 0
; COMPUTE_PGM_RSRC2:USER_SGPR: 6
; COMPUTE_PGM_RSRC2:TRAP_HANDLER: 0
; COMPUTE_PGM_RSRC2:TGID_X_EN: 1
; COMPUTE_PGM_RSRC2:TGID_Y_EN: 0
; COMPUTE_PGM_RSRC2:TGID_Z_EN: 0
; COMPUTE_PGM_RSRC2:TIDIG_COMP_CNT: 0
	.section	.text._ZN2at6native12_GLOBAL__N_132conv_depthwise2d_backward_kernelILi0ELi0EfiEEvN5torch10headeronly6detail27GenericPackedTensorAccessorINS5_14TensorAccessorIN3c108ArrayRefIlEEKT1_Lm3ENS4_16DefaultPtrTraitsEiEENS_6detail16IndexBoundsCheckILm4EiEESC_Lm4ESD_iEENS6_INS7_ISA_SB_Lm3ESD_iEESH_SB_Lm4ESD_iEESI_T2_iiiiiiiiiiiiiii,"axG",@progbits,_ZN2at6native12_GLOBAL__N_132conv_depthwise2d_backward_kernelILi0ELi0EfiEEvN5torch10headeronly6detail27GenericPackedTensorAccessorINS5_14TensorAccessorIN3c108ArrayRefIlEEKT1_Lm3ENS4_16DefaultPtrTraitsEiEENS_6detail16IndexBoundsCheckILm4EiEESC_Lm4ESD_iEENS6_INS7_ISA_SB_Lm3ESD_iEESH_SB_Lm4ESD_iEESI_T2_iiiiiiiiiiiiiii,comdat
	.globl	_ZN2at6native12_GLOBAL__N_132conv_depthwise2d_backward_kernelILi0ELi0EfiEEvN5torch10headeronly6detail27GenericPackedTensorAccessorINS5_14TensorAccessorIN3c108ArrayRefIlEEKT1_Lm3ENS4_16DefaultPtrTraitsEiEENS_6detail16IndexBoundsCheckILm4EiEESC_Lm4ESD_iEENS6_INS7_ISA_SB_Lm3ESD_iEESH_SB_Lm4ESD_iEESI_T2_iiiiiiiiiiiiiii ; -- Begin function _ZN2at6native12_GLOBAL__N_132conv_depthwise2d_backward_kernelILi0ELi0EfiEEvN5torch10headeronly6detail27GenericPackedTensorAccessorINS5_14TensorAccessorIN3c108ArrayRefIlEEKT1_Lm3ENS4_16DefaultPtrTraitsEiEENS_6detail16IndexBoundsCheckILm4EiEESC_Lm4ESD_iEENS6_INS7_ISA_SB_Lm3ESD_iEESH_SB_Lm4ESD_iEESI_T2_iiiiiiiiiiiiiii
	.p2align	8
	.type	_ZN2at6native12_GLOBAL__N_132conv_depthwise2d_backward_kernelILi0ELi0EfiEEvN5torch10headeronly6detail27GenericPackedTensorAccessorINS5_14TensorAccessorIN3c108ArrayRefIlEEKT1_Lm3ENS4_16DefaultPtrTraitsEiEENS_6detail16IndexBoundsCheckILm4EiEESC_Lm4ESD_iEENS6_INS7_ISA_SB_Lm3ESD_iEESH_SB_Lm4ESD_iEESI_T2_iiiiiiiiiiiiiii,@function
_ZN2at6native12_GLOBAL__N_132conv_depthwise2d_backward_kernelILi0ELi0EfiEEvN5torch10headeronly6detail27GenericPackedTensorAccessorINS5_14TensorAccessorIN3c108ArrayRefIlEEKT1_Lm3ENS4_16DefaultPtrTraitsEiEENS_6detail16IndexBoundsCheckILm4EiEESC_Lm4ESD_iEENS6_INS7_ISA_SB_Lm3ESD_iEESH_SB_Lm4ESD_iEESI_T2_iiiiiiiiiiiiiii: ; @_ZN2at6native12_GLOBAL__N_132conv_depthwise2d_backward_kernelILi0ELi0EfiEEvN5torch10headeronly6detail27GenericPackedTensorAccessorINS5_14TensorAccessorIN3c108ArrayRefIlEEKT1_Lm3ENS4_16DefaultPtrTraitsEiEENS_6detail16IndexBoundsCheckILm4EiEESC_Lm4ESD_iEENS6_INS7_ISA_SB_Lm3ESD_iEESH_SB_Lm4ESD_iEESI_T2_iiiiiiiiiiiiiii
; %bb.0:
	s_load_dword s2, s[4:5], 0xc4
	s_load_dwordx16 s[12:27], s[4:5], 0x78
	s_add_u32 s0, s4, 0xb8
	s_addc_u32 s1, s5, 0
	v_mov_b32_e32 v1, 0
	s_waitcnt lgkmcnt(0)
	s_and_b32 s2, s2, 0xffff
	v_mov_b32_e32 v2, s6
	v_mad_u64_u32 v[1:2], s[8:9], s2, v2, v[0:1]
	s_ashr_i32 s11, s12, 31
	s_mov_b32 s10, s12
	v_cmp_gt_i64_e32 vcc, s[10:11], v[1:2]
	s_and_saveexec_b64 s[8:9], vcc
	s_cbranch_execz .LBB39_19
; %bb.1:
	s_cmp_gt_i32 s14, 0
	s_load_dword s3, s[0:1], 0x0
	s_cselect_b64 s[0:1], -1, 0
	s_cmp_gt_i32 s21, 0
	s_cselect_b64 s[28:29], -1, 0
	s_cmp_gt_i32 s20, 0
	s_cselect_b64 s[30:31], -1, 0
	s_abs_i32 s12, s16
	v_cvt_f32_u32_e32 v3, s12
	s_abs_i32 s33, s17
	v_cvt_f32_u32_e32 v4, s33
	s_waitcnt lgkmcnt(0)
	s_mul_i32 s46, s3, s2
	v_rcp_iflag_f32_e32 v3, v3
	s_sub_i32 s3, 0, s12
	v_rcp_iflag_f32_e32 v4, v4
	s_abs_i32 s48, s13
	v_mul_f32_e32 v3, 0x4f7ffffe, v3
	v_cvt_u32_f32_e32 v3, v3
	v_mul_f32_e32 v4, 0x4f7ffffe, v4
	v_cvt_u32_f32_e32 v4, v4
	v_cvt_f32_u32_e32 v6, s48
	v_mul_lo_u32 v5, s3, v3
	s_sub_i32 s3, 0, s33
	v_mul_lo_u32 v7, s3, v4
	v_rcp_iflag_f32_e32 v8, v6
	v_mul_hi_u32 v5, v3, v5
	s_abs_i32 s50, s23
	s_abs_i32 s51, s22
	s_sub_i32 s3, 0, s48
	v_add_u32_e32 v6, v3, v5
	v_mul_hi_u32 v3, v4, v7
	v_mul_f32_e32 v5, 0x4f7ffffe, v8
	v_cvt_f32_u32_e32 v7, s50
	v_cvt_u32_f32_e32 v5, v5
	v_cvt_f32_u32_e32 v8, s51
	s_load_dwordx2 s[34:35], s[4:5], 0x0
	s_load_dwordx2 s[36:37], s[4:5], 0x28
	;; [unrolled: 1-line block ×3, first 2 shown]
	v_rcp_iflag_f32_e32 v10, v7
	v_mul_lo_u32 v9, s3, v5
	v_add_u32_e32 v7, v4, v3
	v_rcp_iflag_f32_e32 v3, v8
	v_mul_f32_e32 v8, 0x4f7ffffe, v10
	v_mul_hi_u32 v4, v5, v9
	v_cvt_u32_f32_e32 v9, v8
	v_mul_f32_e32 v3, 0x4f7ffffe, v3
	v_cvt_u32_f32_e32 v3, v3
	s_sub_i32 s3, 0, s50
	v_mul_lo_u32 v8, s3, v9
	s_sub_i32 s3, 0, s51
	v_mul_lo_u32 v10, s3, v3
	s_mul_i32 s2, s6, s2
	v_mul_hi_u32 v11, v9, v8
	v_add_u32_e32 v8, v5, v4
	v_mul_hi_u32 v4, v3, v10
	s_add_i32 s2, s2, s24
	s_mul_i32 s24, s21, s20
	s_ashr_i32 s47, s16, 31
	v_add_u32_e32 v10, v3, v4
	v_cndmask_b32_e64 v3, 0, 1, s[0:1]
	s_ashr_i32 s49, s17, 31
	s_ashr_i32 s52, s13, 31
	;; [unrolled: 1-line block ×3, first 2 shown]
	v_add_u32_e32 v9, v9, v11
	s_ashr_i32 s54, s22, 31
	v_add_u32_e32 v0, s2, v0
	s_mul_i32 s55, s24, s14
	s_max_i32 s56, s20, 0
	s_mov_b64 s[40:41], 0
	v_cmp_ne_u32_e64 s[0:1], 1, v3
	s_branch .LBB39_4
.LBB39_2:                               ;   in Loop: Header=BB39_4 Depth=1
	v_mov_b32_e32 v11, 0
.LBB39_3:                               ;   in Loop: Header=BB39_4 Depth=1
	v_lshlrev_b64 v[3:4], 2, v[1:2]
	s_waitcnt lgkmcnt(0)
	v_mov_b32_e32 v5, s37
	v_add_co_u32_e32 v3, vcc, s36, v3
	v_addc_co_u32_e32 v4, vcc, v5, v4, vcc
	v_add_co_u32_e32 v1, vcc, s46, v1
	v_addc_co_u32_e32 v2, vcc, 0, v2, vcc
	v_cmp_le_i64_e32 vcc, s[10:11], v[1:2]
	v_add_u32_e32 v0, s46, v0
	s_or_b64 s[40:41], vcc, s[40:41]
	global_store_dword v[3:4], v11, off
	s_andn2_b64 exec, exec, s[40:41]
	s_cbranch_execz .LBB39_19
.LBB39_4:                               ; =>This Loop Header: Depth=1
                                        ;     Child Loop BB39_7 Depth 2
                                        ;       Child Loop BB39_10 Depth 3
                                        ;         Child Loop BB39_15 Depth 4
	s_and_b64 vcc, exec, s[0:1]
	s_cbranch_vccnz .LBB39_2
; %bb.5:                                ;   in Loop: Header=BB39_4 Depth=1
	v_sub_u32_e32 v3, 0, v1
	v_max_i32_e32 v3, v1, v3
	v_mul_hi_u32 v4, v3, v6
	v_ashrrev_i32_e32 v11, 31, v1
	v_xor_b32_e32 v11, s47, v11
	s_mov_b32 s57, 0
	v_mul_lo_u32 v5, v4, s12
	v_add_u32_e32 v12, 1, v4
	v_sub_u32_e32 v3, v3, v5
	v_cmp_le_u32_e32 vcc, s12, v3
	v_subrev_u32_e32 v5, s12, v3
	v_cndmask_b32_e32 v4, v4, v12, vcc
	v_cndmask_b32_e32 v3, v3, v5, vcc
	v_add_u32_e32 v5, 1, v4
	v_cmp_le_u32_e32 vcc, s12, v3
	v_cndmask_b32_e32 v3, v4, v5, vcc
	v_xor_b32_e32 v3, v3, v11
	v_sub_u32_e32 v3, v3, v11
	v_sub_u32_e32 v4, 0, v3
	v_max_i32_e32 v4, v3, v4
	v_mul_hi_u32 v5, v4, v7
	v_ashrrev_i32_e32 v12, 31, v3
	v_xor_b32_e32 v12, s49, v12
	v_mul_lo_u32 v17, s16, v3
	v_mul_lo_u32 v11, v5, s33
	v_add_u32_e32 v13, 1, v5
	v_add_u32_e32 v16, s25, v3
	v_sub_u32_e32 v17, v0, v17
	v_sub_u32_e32 v4, v4, v11
	v_cmp_le_u32_e32 vcc, s33, v4
	v_subrev_u32_e32 v11, s33, v4
	v_cndmask_b32_e32 v5, v5, v13, vcc
	v_cndmask_b32_e32 v4, v4, v11, vcc
	v_add_u32_e32 v11, 1, v5
	v_cmp_le_u32_e32 vcc, s33, v4
	v_cndmask_b32_e32 v4, v5, v11, vcc
	v_xor_b32_e32 v4, v4, v12
	v_sub_u32_e32 v4, v4, v12
	v_sub_u32_e32 v5, 0, v4
	v_max_i32_e32 v5, v4, v5
	v_mul_hi_u32 v11, v5, v8
	v_ashrrev_i32_e32 v13, 31, v4
	v_xor_b32_e32 v13, s52, v13
	v_mul_lo_u32 v12, v11, s48
	v_add_u32_e32 v14, 1, v11
	v_sub_u32_e32 v5, v5, v12
	v_cmp_le_u32_e32 vcc, s48, v5
	v_subrev_u32_e32 v12, s48, v5
	v_cndmask_b32_e32 v11, v11, v14, vcc
	v_cndmask_b32_e32 v5, v5, v12, vcc
	v_add_u32_e32 v12, 1, v11
	v_cmp_le_u32_e32 vcc, s48, v5
	v_cndmask_b32_e32 v5, v11, v12, vcc
	v_xor_b32_e32 v5, v5, v13
	v_sub_u32_e32 v5, v5, v13
	v_mul_lo_u32 v11, v5, s13
	v_mul_lo_u32 v12, s17, v4
	;; [unrolled: 1-line block ×3, first 2 shown]
	v_sub_u32_e32 v4, v4, v11
	v_mul_lo_u32 v13, v4, s14
	v_mul_lo_u32 v15, s55, v4
	v_mov_b32_e32 v11, 0
	s_branch .LBB39_7
.LBB39_6:                               ;   in Loop: Header=BB39_7 Depth=2
	s_add_i32 s57, s57, 1
	s_cmp_eq_u32 s57, s14
	v_add_u32_e32 v15, s24, v15
	s_cbranch_scc1 .LBB39_3
.LBB39_7:                               ;   Parent Loop BB39_4 Depth=1
                                        ; =>  This Loop Header: Depth=2
                                        ;       Child Loop BB39_10 Depth 3
                                        ;         Child Loop BB39_15 Depth 4
	s_andn2_b64 vcc, exec, s[28:29]
	s_cbranch_vccnz .LBB39_6
; %bb.8:                                ;   in Loop: Header=BB39_7 Depth=2
	v_add3_u32 v3, s57, v13, v14
	v_mul_lo_u32 v18, v3, s19
	s_mov_b32 s58, 0
	v_mov_b32_e32 v3, v15
	s_branch .LBB39_10
.LBB39_9:                               ;   in Loop: Header=BB39_10 Depth=3
	s_add_i32 s58, s58, 1
	s_cmp_eq_u32 s58, s21
	v_add_u32_e32 v3, s56, v3
	s_cbranch_scc1 .LBB39_6
.LBB39_10:                              ;   Parent Loop BB39_4 Depth=1
                                        ;     Parent Loop BB39_7 Depth=2
                                        ; =>    This Loop Header: Depth=3
                                        ;         Child Loop BB39_15 Depth 4
	s_andn2_b64 vcc, exec, s[30:31]
	s_cbranch_vccnz .LBB39_9
; %bb.11:                               ;   in Loop: Header=BB39_10 Depth=3
	s_mul_i32 s2, s27, s58
	v_add_u32_e32 v4, s2, v12
	v_sub_u32_e32 v19, v16, v4
	v_sub_u32_e32 v4, 0, v19
	v_max_i32_e32 v20, v19, v4
	v_mul_hi_u32 v21, v20, v9
	v_ashrrev_i32_e32 v24, 31, v19
	v_xor_b32_e32 v24, s53, v24
	v_ashrrev_i32_e32 v4, 31, v3
	v_mul_lo_u32 v23, v21, s50
	v_add_u32_e32 v25, 1, v21
	v_lshlrev_b64 v[4:5], 2, v[3:4]
	s_waitcnt lgkmcnt(0)
	v_mov_b32_e32 v22, s39
	v_sub_u32_e32 v20, v20, v23
	v_cmp_le_u32_e32 vcc, s50, v20
	v_subrev_u32_e32 v23, s50, v20
	v_cndmask_b32_e32 v21, v21, v25, vcc
	v_cndmask_b32_e32 v20, v20, v23, vcc
	v_add_u32_e32 v23, 1, v21
	v_cmp_le_u32_e32 vcc, s50, v20
	v_cndmask_b32_e32 v20, v21, v23, vcc
	v_xor_b32_e32 v20, v20, v24
	v_sub_u32_e32 v20, v20, v24
	v_mul_lo_u32 v21, v20, s23
	v_add_co_u32_e32 v4, vcc, s38, v4
	v_addc_co_u32_e32 v5, vcc, v22, v5, vcc
	v_sub_u32_e32 v19, v19, v21
	v_cmp_eq_u32_e32 vcc, 0, v19
	v_add_u32_e32 v19, v20, v18
	v_mul_lo_u32 v19, v19, s18
	v_cmp_lt_i32_e64 s[2:3], -1, v20
	v_cmp_gt_i32_e64 s[4:5], s19, v20
	s_mov_b32 s59, s20
	v_mov_b32_e32 v20, v17
	s_branch .LBB39_15
.LBB39_12:                              ;   in Loop: Header=BB39_15 Depth=4
	s_or_b64 exec, exec, s[8:9]
.LBB39_13:                              ;   in Loop: Header=BB39_15 Depth=4
	s_or_b64 exec, exec, s[44:45]
.LBB39_14:                              ;   in Loop: Header=BB39_15 Depth=4
	s_or_b64 exec, exec, s[42:43]
	s_add_i32 s59, s59, -1
	v_add_co_u32_e64 v4, s[6:7], 4, v4
	v_subrev_u32_e32 v20, s26, v20
	s_cmp_eq_u32 s59, 0
	v_addc_co_u32_e64 v5, s[6:7], 0, v5, s[6:7]
	s_cbranch_scc1 .LBB39_9
.LBB39_15:                              ;   Parent Loop BB39_4 Depth=1
                                        ;     Parent Loop BB39_7 Depth=2
                                        ;       Parent Loop BB39_10 Depth=3
                                        ; =>      This Inner Loop Header: Depth=4
	s_and_saveexec_b64 s[42:43], vcc
	s_cbranch_execz .LBB39_14
; %bb.16:                               ;   in Loop: Header=BB39_15 Depth=4
	v_sub_u32_e32 v21, 0, v20
	v_max_i32_e32 v21, v20, v21
	v_mul_hi_u32 v22, v21, v10
	v_ashrrev_i32_e32 v24, 31, v20
	v_xor_b32_e32 v24, s54, v24
	v_mul_lo_u32 v23, v22, s51
	v_add_u32_e32 v25, 1, v22
	v_sub_u32_e32 v21, v21, v23
	v_cmp_le_u32_e64 s[6:7], s51, v21
	v_subrev_u32_e32 v23, s51, v21
	v_cndmask_b32_e64 v22, v22, v25, s[6:7]
	v_cndmask_b32_e64 v21, v21, v23, s[6:7]
	v_add_u32_e32 v23, 1, v22
	v_cmp_le_u32_e64 s[6:7], s51, v21
	v_cndmask_b32_e64 v21, v22, v23, s[6:7]
	v_xor_b32_e32 v21, v21, v24
	v_sub_u32_e32 v21, v21, v24
	v_mul_lo_u32 v22, v21, s22
	v_sub_u32_e32 v22, v20, v22
	v_cmp_eq_u32_e64 s[6:7], 0, v22
	s_and_b64 s[6:7], s[6:7], s[2:3]
	s_and_saveexec_b64 s[44:45], s[6:7]
	s_cbranch_execz .LBB39_13
; %bb.17:                               ;   in Loop: Header=BB39_15 Depth=4
	v_cmp_lt_i32_e64 s[6:7], -1, v21
	v_cmp_gt_i32_e64 s[8:9], s18, v21
	s_and_b64 s[6:7], s[6:7], s[8:9]
	s_and_b64 s[6:7], s[4:5], s[6:7]
	s_and_saveexec_b64 s[8:9], s[6:7]
	s_cbranch_execz .LBB39_12
; %bb.18:                               ;   in Loop: Header=BB39_15 Depth=4
	v_add_u32_e32 v21, v19, v21
	v_ashrrev_i32_e32 v22, 31, v21
	v_lshlrev_b64 v[21:22], 2, v[21:22]
	v_mov_b32_e32 v24, s35
	v_add_co_u32_e64 v21, s[6:7], s34, v21
	v_addc_co_u32_e64 v22, s[6:7], v24, v22, s[6:7]
	global_load_dword v23, v[4:5], off
	s_nop 0
	global_load_dword v21, v[21:22], off
	s_waitcnt vmcnt(0)
	v_fmac_f32_e32 v11, v23, v21
	s_branch .LBB39_12
.LBB39_19:
	s_endpgm
	.section	.rodata,"a",@progbits
	.p2align	6, 0x0
	.amdhsa_kernel _ZN2at6native12_GLOBAL__N_132conv_depthwise2d_backward_kernelILi0ELi0EfiEEvN5torch10headeronly6detail27GenericPackedTensorAccessorINS5_14TensorAccessorIN3c108ArrayRefIlEEKT1_Lm3ENS4_16DefaultPtrTraitsEiEENS_6detail16IndexBoundsCheckILm4EiEESC_Lm4ESD_iEENS6_INS7_ISA_SB_Lm3ESD_iEESH_SB_Lm4ESD_iEESI_T2_iiiiiiiiiiiiiii
		.amdhsa_group_segment_fixed_size 0
		.amdhsa_private_segment_fixed_size 0
		.amdhsa_kernarg_size 440
		.amdhsa_user_sgpr_count 6
		.amdhsa_user_sgpr_private_segment_buffer 1
		.amdhsa_user_sgpr_dispatch_ptr 0
		.amdhsa_user_sgpr_queue_ptr 0
		.amdhsa_user_sgpr_kernarg_segment_ptr 1
		.amdhsa_user_sgpr_dispatch_id 0
		.amdhsa_user_sgpr_flat_scratch_init 0
		.amdhsa_user_sgpr_private_segment_size 0
		.amdhsa_uses_dynamic_stack 0
		.amdhsa_system_sgpr_private_segment_wavefront_offset 0
		.amdhsa_system_sgpr_workgroup_id_x 1
		.amdhsa_system_sgpr_workgroup_id_y 0
		.amdhsa_system_sgpr_workgroup_id_z 0
		.amdhsa_system_sgpr_workgroup_info 0
		.amdhsa_system_vgpr_workitem_id 0
		.amdhsa_next_free_vgpr 26
		.amdhsa_next_free_sgpr 60
		.amdhsa_reserve_vcc 1
		.amdhsa_reserve_flat_scratch 0
		.amdhsa_float_round_mode_32 0
		.amdhsa_float_round_mode_16_64 0
		.amdhsa_float_denorm_mode_32 3
		.amdhsa_float_denorm_mode_16_64 3
		.amdhsa_dx10_clamp 1
		.amdhsa_ieee_mode 1
		.amdhsa_fp16_overflow 0
		.amdhsa_exception_fp_ieee_invalid_op 0
		.amdhsa_exception_fp_denorm_src 0
		.amdhsa_exception_fp_ieee_div_zero 0
		.amdhsa_exception_fp_ieee_overflow 0
		.amdhsa_exception_fp_ieee_underflow 0
		.amdhsa_exception_fp_ieee_inexact 0
		.amdhsa_exception_int_div_zero 0
	.end_amdhsa_kernel
	.section	.text._ZN2at6native12_GLOBAL__N_132conv_depthwise2d_backward_kernelILi0ELi0EfiEEvN5torch10headeronly6detail27GenericPackedTensorAccessorINS5_14TensorAccessorIN3c108ArrayRefIlEEKT1_Lm3ENS4_16DefaultPtrTraitsEiEENS_6detail16IndexBoundsCheckILm4EiEESC_Lm4ESD_iEENS6_INS7_ISA_SB_Lm3ESD_iEESH_SB_Lm4ESD_iEESI_T2_iiiiiiiiiiiiiii,"axG",@progbits,_ZN2at6native12_GLOBAL__N_132conv_depthwise2d_backward_kernelILi0ELi0EfiEEvN5torch10headeronly6detail27GenericPackedTensorAccessorINS5_14TensorAccessorIN3c108ArrayRefIlEEKT1_Lm3ENS4_16DefaultPtrTraitsEiEENS_6detail16IndexBoundsCheckILm4EiEESC_Lm4ESD_iEENS6_INS7_ISA_SB_Lm3ESD_iEESH_SB_Lm4ESD_iEESI_T2_iiiiiiiiiiiiiii,comdat
.Lfunc_end39:
	.size	_ZN2at6native12_GLOBAL__N_132conv_depthwise2d_backward_kernelILi0ELi0EfiEEvN5torch10headeronly6detail27GenericPackedTensorAccessorINS5_14TensorAccessorIN3c108ArrayRefIlEEKT1_Lm3ENS4_16DefaultPtrTraitsEiEENS_6detail16IndexBoundsCheckILm4EiEESC_Lm4ESD_iEENS6_INS7_ISA_SB_Lm3ESD_iEESH_SB_Lm4ESD_iEESI_T2_iiiiiiiiiiiiiii, .Lfunc_end39-_ZN2at6native12_GLOBAL__N_132conv_depthwise2d_backward_kernelILi0ELi0EfiEEvN5torch10headeronly6detail27GenericPackedTensorAccessorINS5_14TensorAccessorIN3c108ArrayRefIlEEKT1_Lm3ENS4_16DefaultPtrTraitsEiEENS_6detail16IndexBoundsCheckILm4EiEESC_Lm4ESD_iEENS6_INS7_ISA_SB_Lm3ESD_iEESH_SB_Lm4ESD_iEESI_T2_iiiiiiiiiiiiiii
                                        ; -- End function
	.set _ZN2at6native12_GLOBAL__N_132conv_depthwise2d_backward_kernelILi0ELi0EfiEEvN5torch10headeronly6detail27GenericPackedTensorAccessorINS5_14TensorAccessorIN3c108ArrayRefIlEEKT1_Lm3ENS4_16DefaultPtrTraitsEiEENS_6detail16IndexBoundsCheckILm4EiEESC_Lm4ESD_iEENS6_INS7_ISA_SB_Lm3ESD_iEESH_SB_Lm4ESD_iEESI_T2_iiiiiiiiiiiiiii.num_vgpr, 26
	.set _ZN2at6native12_GLOBAL__N_132conv_depthwise2d_backward_kernelILi0ELi0EfiEEvN5torch10headeronly6detail27GenericPackedTensorAccessorINS5_14TensorAccessorIN3c108ArrayRefIlEEKT1_Lm3ENS4_16DefaultPtrTraitsEiEENS_6detail16IndexBoundsCheckILm4EiEESC_Lm4ESD_iEENS6_INS7_ISA_SB_Lm3ESD_iEESH_SB_Lm4ESD_iEESI_T2_iiiiiiiiiiiiiii.num_agpr, 0
	.set _ZN2at6native12_GLOBAL__N_132conv_depthwise2d_backward_kernelILi0ELi0EfiEEvN5torch10headeronly6detail27GenericPackedTensorAccessorINS5_14TensorAccessorIN3c108ArrayRefIlEEKT1_Lm3ENS4_16DefaultPtrTraitsEiEENS_6detail16IndexBoundsCheckILm4EiEESC_Lm4ESD_iEENS6_INS7_ISA_SB_Lm3ESD_iEESH_SB_Lm4ESD_iEESI_T2_iiiiiiiiiiiiiii.numbered_sgpr, 60
	.set _ZN2at6native12_GLOBAL__N_132conv_depthwise2d_backward_kernelILi0ELi0EfiEEvN5torch10headeronly6detail27GenericPackedTensorAccessorINS5_14TensorAccessorIN3c108ArrayRefIlEEKT1_Lm3ENS4_16DefaultPtrTraitsEiEENS_6detail16IndexBoundsCheckILm4EiEESC_Lm4ESD_iEENS6_INS7_ISA_SB_Lm3ESD_iEESH_SB_Lm4ESD_iEESI_T2_iiiiiiiiiiiiiii.num_named_barrier, 0
	.set _ZN2at6native12_GLOBAL__N_132conv_depthwise2d_backward_kernelILi0ELi0EfiEEvN5torch10headeronly6detail27GenericPackedTensorAccessorINS5_14TensorAccessorIN3c108ArrayRefIlEEKT1_Lm3ENS4_16DefaultPtrTraitsEiEENS_6detail16IndexBoundsCheckILm4EiEESC_Lm4ESD_iEENS6_INS7_ISA_SB_Lm3ESD_iEESH_SB_Lm4ESD_iEESI_T2_iiiiiiiiiiiiiii.private_seg_size, 0
	.set _ZN2at6native12_GLOBAL__N_132conv_depthwise2d_backward_kernelILi0ELi0EfiEEvN5torch10headeronly6detail27GenericPackedTensorAccessorINS5_14TensorAccessorIN3c108ArrayRefIlEEKT1_Lm3ENS4_16DefaultPtrTraitsEiEENS_6detail16IndexBoundsCheckILm4EiEESC_Lm4ESD_iEENS6_INS7_ISA_SB_Lm3ESD_iEESH_SB_Lm4ESD_iEESI_T2_iiiiiiiiiiiiiii.uses_vcc, 1
	.set _ZN2at6native12_GLOBAL__N_132conv_depthwise2d_backward_kernelILi0ELi0EfiEEvN5torch10headeronly6detail27GenericPackedTensorAccessorINS5_14TensorAccessorIN3c108ArrayRefIlEEKT1_Lm3ENS4_16DefaultPtrTraitsEiEENS_6detail16IndexBoundsCheckILm4EiEESC_Lm4ESD_iEENS6_INS7_ISA_SB_Lm3ESD_iEESH_SB_Lm4ESD_iEESI_T2_iiiiiiiiiiiiiii.uses_flat_scratch, 0
	.set _ZN2at6native12_GLOBAL__N_132conv_depthwise2d_backward_kernelILi0ELi0EfiEEvN5torch10headeronly6detail27GenericPackedTensorAccessorINS5_14TensorAccessorIN3c108ArrayRefIlEEKT1_Lm3ENS4_16DefaultPtrTraitsEiEENS_6detail16IndexBoundsCheckILm4EiEESC_Lm4ESD_iEENS6_INS7_ISA_SB_Lm3ESD_iEESH_SB_Lm4ESD_iEESI_T2_iiiiiiiiiiiiiii.has_dyn_sized_stack, 0
	.set _ZN2at6native12_GLOBAL__N_132conv_depthwise2d_backward_kernelILi0ELi0EfiEEvN5torch10headeronly6detail27GenericPackedTensorAccessorINS5_14TensorAccessorIN3c108ArrayRefIlEEKT1_Lm3ENS4_16DefaultPtrTraitsEiEENS_6detail16IndexBoundsCheckILm4EiEESC_Lm4ESD_iEENS6_INS7_ISA_SB_Lm3ESD_iEESH_SB_Lm4ESD_iEESI_T2_iiiiiiiiiiiiiii.has_recursion, 0
	.set _ZN2at6native12_GLOBAL__N_132conv_depthwise2d_backward_kernelILi0ELi0EfiEEvN5torch10headeronly6detail27GenericPackedTensorAccessorINS5_14TensorAccessorIN3c108ArrayRefIlEEKT1_Lm3ENS4_16DefaultPtrTraitsEiEENS_6detail16IndexBoundsCheckILm4EiEESC_Lm4ESD_iEENS6_INS7_ISA_SB_Lm3ESD_iEESH_SB_Lm4ESD_iEESI_T2_iiiiiiiiiiiiiii.has_indirect_call, 0
	.section	.AMDGPU.csdata,"",@progbits
; Kernel info:
; codeLenInByte = 1352
; TotalNumSgprs: 64
; NumVgprs: 26
; ScratchSize: 0
; MemoryBound: 0
; FloatMode: 240
; IeeeMode: 1
; LDSByteSize: 0 bytes/workgroup (compile time only)
; SGPRBlocks: 7
; VGPRBlocks: 6
; NumSGPRsForWavesPerEU: 64
; NumVGPRsForWavesPerEU: 26
; Occupancy: 9
; WaveLimiterHint : 0
; COMPUTE_PGM_RSRC2:SCRATCH_EN: 0
; COMPUTE_PGM_RSRC2:USER_SGPR: 6
; COMPUTE_PGM_RSRC2:TRAP_HANDLER: 0
; COMPUTE_PGM_RSRC2:TGID_X_EN: 1
; COMPUTE_PGM_RSRC2:TGID_Y_EN: 0
; COMPUTE_PGM_RSRC2:TGID_Z_EN: 0
; COMPUTE_PGM_RSRC2:TIDIG_COMP_CNT: 0
	.section	.text._ZN2at6native12_GLOBAL__N_132conv_depthwise2d_backward_kernelILi5ELi1EN3c104HalfEiEEvN5torch10headeronly6detail27GenericPackedTensorAccessorINS7_14TensorAccessorINS3_8ArrayRefIlEEKT1_Lm3ENS6_16DefaultPtrTraitsEiEENS_6detail16IndexBoundsCheckILm4EiEESD_Lm4ESE_iEENS8_INS9_ISB_SC_Lm3ESE_iEESI_SC_Lm4ESE_iEESJ_T2_iiiiiiiiiiiiiii,"axG",@progbits,_ZN2at6native12_GLOBAL__N_132conv_depthwise2d_backward_kernelILi5ELi1EN3c104HalfEiEEvN5torch10headeronly6detail27GenericPackedTensorAccessorINS7_14TensorAccessorINS3_8ArrayRefIlEEKT1_Lm3ENS6_16DefaultPtrTraitsEiEENS_6detail16IndexBoundsCheckILm4EiEESD_Lm4ESE_iEENS8_INS9_ISB_SC_Lm3ESE_iEESI_SC_Lm4ESE_iEESJ_T2_iiiiiiiiiiiiiii,comdat
	.globl	_ZN2at6native12_GLOBAL__N_132conv_depthwise2d_backward_kernelILi5ELi1EN3c104HalfEiEEvN5torch10headeronly6detail27GenericPackedTensorAccessorINS7_14TensorAccessorINS3_8ArrayRefIlEEKT1_Lm3ENS6_16DefaultPtrTraitsEiEENS_6detail16IndexBoundsCheckILm4EiEESD_Lm4ESE_iEENS8_INS9_ISB_SC_Lm3ESE_iEESI_SC_Lm4ESE_iEESJ_T2_iiiiiiiiiiiiiii ; -- Begin function _ZN2at6native12_GLOBAL__N_132conv_depthwise2d_backward_kernelILi5ELi1EN3c104HalfEiEEvN5torch10headeronly6detail27GenericPackedTensorAccessorINS7_14TensorAccessorINS3_8ArrayRefIlEEKT1_Lm3ENS6_16DefaultPtrTraitsEiEENS_6detail16IndexBoundsCheckILm4EiEESD_Lm4ESE_iEENS8_INS9_ISB_SC_Lm3ESE_iEESI_SC_Lm4ESE_iEESJ_T2_iiiiiiiiiiiiiii
	.p2align	8
	.type	_ZN2at6native12_GLOBAL__N_132conv_depthwise2d_backward_kernelILi5ELi1EN3c104HalfEiEEvN5torch10headeronly6detail27GenericPackedTensorAccessorINS7_14TensorAccessorINS3_8ArrayRefIlEEKT1_Lm3ENS6_16DefaultPtrTraitsEiEENS_6detail16IndexBoundsCheckILm4EiEESD_Lm4ESE_iEENS8_INS9_ISB_SC_Lm3ESE_iEESI_SC_Lm4ESE_iEESJ_T2_iiiiiiiiiiiiiii,@function
_ZN2at6native12_GLOBAL__N_132conv_depthwise2d_backward_kernelILi5ELi1EN3c104HalfEiEEvN5torch10headeronly6detail27GenericPackedTensorAccessorINS7_14TensorAccessorINS3_8ArrayRefIlEEKT1_Lm3ENS6_16DefaultPtrTraitsEiEENS_6detail16IndexBoundsCheckILm4EiEESD_Lm4ESE_iEENS8_INS9_ISB_SC_Lm3ESE_iEESI_SC_Lm4ESE_iEESJ_T2_iiiiiiiiiiiiiii: ; @_ZN2at6native12_GLOBAL__N_132conv_depthwise2d_backward_kernelILi5ELi1EN3c104HalfEiEEvN5torch10headeronly6detail27GenericPackedTensorAccessorINS7_14TensorAccessorINS3_8ArrayRefIlEEKT1_Lm3ENS6_16DefaultPtrTraitsEiEENS_6detail16IndexBoundsCheckILm4EiEESD_Lm4ESE_iEENS8_INS9_ISB_SC_Lm3ESE_iEESI_SC_Lm4ESE_iEESJ_T2_iiiiiiiiiiiiiii
; %bb.0:
	s_load_dword s2, s[4:5], 0xc4
	s_load_dwordx8 s[20:27], s[4:5], 0x78
	s_add_u32 s0, s4, 0xb8
	s_addc_u32 s1, s5, 0
	v_mov_b32_e32 v1, 0
	s_waitcnt lgkmcnt(0)
	s_and_b32 s2, s2, 0xffff
	v_mov_b32_e32 v2, s6
	v_mad_u64_u32 v[1:2], s[8:9], s2, v2, v[0:1]
	s_ashr_i32 s19, s20, 31
	s_mov_b32 s18, s20
	v_cmp_gt_i64_e32 vcc, s[18:19], v[1:2]
	s_and_saveexec_b64 s[8:9], vcc
	s_cbranch_execz .LBB40_58
; %bb.1:
	s_cmp_gt_i32 s22, 0
	s_cselect_b64 s[8:9], -1, 0
	s_abs_i32 s20, s24
	v_cvt_f32_u32_e32 v3, s20
	s_abs_i32 s33, s25
	v_cvt_f32_u32_e32 v4, s33
	;; [unrolled: 2-line block ×3, first 2 shown]
	v_rcp_iflag_f32_e32 v3, v3
	v_rcp_iflag_f32_e32 v4, v4
	s_load_dwordx2 s[10:11], s[4:5], 0x98
	s_load_dwordx2 s[34:35], s[4:5], 0x0
	;; [unrolled: 1-line block ×4, first 2 shown]
	s_load_dword s3, s[0:1], 0x0
	v_rcp_iflag_f32_e32 v5, v5
	v_mul_f32_e32 v3, 0x4f7ffffe, v3
	v_cvt_u32_f32_e32 v3, v3
	v_mul_f32_e32 v4, 0x4f7ffffe, v4
	v_cvt_u32_f32_e32 v4, v4
	;; [unrolled: 2-line block ×3, first 2 shown]
	s_sub_i32 s0, 0, s20
	v_mul_lo_u32 v6, s0, v3
	s_sub_i32 s0, 0, s33
	s_load_dwordx4 s[28:31], s[4:5], 0xa8
	v_mul_lo_u32 v5, s0, v4
	s_sub_i32 s0, 0, s78
	v_mul_lo_u32 v8, s0, v7
	s_ashr_i32 s0, s24, 31
                                        ; implicit-def: $vgpr43 : SGPR spill to VGPR lane
	v_mul_hi_u32 v6, v3, v6
	v_writelane_b32 v43, s0, 0
	s_ashr_i32 s0, s25, 31
	v_writelane_b32 v43, s0, 1
	s_ashr_i32 s0, s21, 31
	v_writelane_b32 v43, s0, 2
	s_mul_i32 s0, s6, s2
	v_mul_hi_u32 v9, v4, v5
	s_waitcnt lgkmcnt(0)
	s_add_i32 s0, s0, s28
	v_add_u32_e32 v0, s0, v0
	s_lshl_b32 s0, s30, 2
	v_add_u32_e32 v5, v3, v6
	v_mul_hi_u32 v3, v7, v8
	v_subrev_u32_e32 v8, s0, v0
	s_lshl_b32 s0, s31, 2
	s_sub_i32 s86, s29, s0
	s_mul_i32 s0, s30, 3
	v_add_u32_e32 v6, v4, v9
	v_subrev_u32_e32 v9, s0, v0
	s_lshl_b32 s0, s30, 1
	v_subrev_u32_e32 v10, s0, v0
	s_mul_i32 s0, s31, 3
	v_add_u32_e32 v7, v7, v3
	s_sub_i32 s88, s29, s0
	s_lshl_b32 s0, s31, 1
	v_cndmask_b32_e64 v3, 0, 1, s[8:9]
	s_mul_i32 s79, s3, s2
	s_mul_i32 s83, s11, s10
	s_sub_i32 s82, 0, s24
	s_mul_i32 s87, s27, s26
	v_subrev_u32_e32 v11, s30, v0
	s_sub_i32 s89, s29, s0
	s_sub_i32 s90, s29, s31
	s_mov_b64 s[40:41], 0
	v_cmp_ne_u32_e64 s[0:1], 1, v3
	s_branch .LBB40_4
.LBB40_2:                               ;   in Loop: Header=BB40_4 Depth=1
	v_cvt_f16_f32_e32 v3, v38
.LBB40_3:                               ;   in Loop: Header=BB40_4 Depth=1
	v_lshlrev_b64 v[12:13], 1, v[1:2]
	v_mov_b32_e32 v4, s37
	v_add_co_u32_e32 v12, vcc, s36, v12
	v_addc_co_u32_e32 v13, vcc, v4, v13, vcc
	v_add_co_u32_e32 v1, vcc, s79, v1
	v_addc_co_u32_e32 v2, vcc, 0, v2, vcc
	v_cmp_le_i64_e32 vcc, s[18:19], v[1:2]
	v_add_u32_e32 v8, s79, v8
	v_add_u32_e32 v9, s79, v9
	;; [unrolled: 1-line block ×4, first 2 shown]
	s_or_b64 s[40:41], vcc, s[40:41]
	v_add_u32_e32 v0, s79, v0
	global_store_short v[12:13], v3, off
	s_andn2_b64 exec, exec, s[40:41]
	s_cbranch_execz .LBB40_58
.LBB40_4:                               ; =>This Loop Header: Depth=1
                                        ;     Child Loop BB40_7 Depth 2
	s_and_b64 vcc, exec, s[0:1]
	s_cbranch_vccnz .LBB40_57
; %bb.5:                                ;   in Loop: Header=BB40_4 Depth=1
	v_sub_u32_e32 v3, 0, v1
	v_max_i32_e32 v4, v1, v3
	v_mul_hi_u32 v12, v4, v5
	v_ashrrev_i32_e32 v3, 31, v1
	v_readlane_b32 s2, v43, 0
	v_xor_b32_e32 v3, s2, v3
	v_mul_lo_u32 v13, v12, s20
	v_add_u32_e32 v14, 1, v12
	v_readlane_b32 s2, v43, 1
	s_mov_b32 s91, s22
	v_sub_u32_e32 v4, v4, v13
	v_cmp_le_u32_e32 vcc, s20, v4
	v_subrev_u32_e32 v13, s20, v4
	v_cndmask_b32_e32 v12, v12, v14, vcc
	v_cndmask_b32_e32 v4, v4, v13, vcc
	v_add_u32_e32 v13, 1, v12
	v_cmp_le_u32_e32 vcc, s20, v4
	v_cndmask_b32_e32 v4, v12, v13, vcc
	v_xor_b32_e32 v25, v4, v3
	v_sub_u32_e32 v4, v25, v3
	v_sub_u32_e32 v12, 0, v4
	v_max_i32_e32 v12, v4, v12
	v_mul_hi_u32 v13, v12, v6
	v_ashrrev_i32_e32 v15, 31, v4
	v_xor_b32_e32 v15, s2, v15
	v_mul_lo_u32 v29, s82, v4
	v_mul_lo_u32 v14, v13, s33
	v_add_u32_e32 v16, 1, v13
	v_sub_u32_e32 v12, v12, v14
	v_cmp_le_u32_e32 vcc, s33, v12
	v_subrev_u32_e32 v14, s33, v12
	v_cndmask_b32_e32 v13, v13, v16, vcc
	v_cndmask_b32_e32 v12, v12, v14, vcc
	v_add_u32_e32 v14, 1, v13
	v_cmp_le_u32_e32 vcc, s33, v12
	v_cndmask_b32_e32 v12, v13, v14, vcc
	v_xor_b32_e32 v12, v12, v15
	v_sub_u32_e32 v12, v12, v15
	v_sub_u32_e32 v13, 0, v12
	v_max_i32_e32 v13, v12, v13
	v_mul_hi_u32 v14, v13, v7
	v_mul_lo_u32 v26, v12, s25
	v_mul_lo_u32 v15, v14, s78
	v_add_u32_e32 v16, 1, v14
	v_sub_u32_e32 v13, v13, v15
	v_cmp_le_u32_e32 vcc, s78, v13
	v_subrev_u32_e32 v15, s78, v13
	v_cndmask_b32_e32 v14, v14, v16, vcc
	v_cndmask_b32_e32 v13, v13, v15, vcc
	v_add_u32_e32 v15, 1, v14
	v_cmp_le_u32_e32 vcc, s78, v13
	v_cndmask_b32_e32 v13, v14, v15, vcc
	v_mul_lo_u32 v14, v4, s24
	v_add_u32_e32 v16, s28, v1
	v_add_u32_e32 v15, s29, v4
	v_sub_u32_e32 v17, v16, v14
	v_add_u32_e32 v14, s30, v14
	v_cmp_lt_i32_e32 vcc, -1, v17
	v_cmp_gt_i32_e64 s[2:3], s26, v17
	v_sub_u32_e32 v17, v16, v14
	v_add_u32_e32 v14, s30, v14
	v_cmp_lt_i32_e64 s[4:5], -1, v17
	v_cmp_gt_i32_e64 s[6:7], s26, v17
	v_sub_u32_e32 v17, v16, v14
	v_add_u32_e32 v14, s30, v14
	v_cmp_lt_i32_e64 s[8:9], -1, v17
	v_cmp_gt_i32_e64 s[10:11], s26, v17
	v_sub_u32_e32 v17, v16, v14
	v_add_u32_e32 v14, s30, v14
	v_sub_u32_e32 v14, v16, v14
	s_and_b64 s[42:43], vcc, s[2:3]
	v_cmp_lt_i32_e32 vcc, -1, v14
	v_cmp_gt_i32_e64 s[2:3], s26, v14
	v_add_u32_e32 v14, s31, v26
	v_cmp_lt_i32_e64 s[12:13], -1, v17
	v_cmp_gt_i32_e64 s[14:15], s26, v17
	v_sub_u32_e32 v16, v15, v14
	v_add_u32_e32 v14, s31, v14
	s_and_b64 s[4:5], s[4:5], s[6:7]
	s_and_b64 s[8:9], s[8:9], s[10:11]
	;; [unrolled: 1-line block ×3, first 2 shown]
	s_and_b64 s[2:3], vcc, s[2:3]
	v_cmp_gt_i32_e32 vcc, s27, v16
	v_sub_u32_e32 v18, v15, v14
	v_add_u32_e32 v14, s31, v14
	s_and_b64 s[46:47], vcc, s[42:43]
	s_and_b64 s[48:49], vcc, s[4:5]
	;; [unrolled: 1-line block ×5, first 2 shown]
	v_cmp_gt_i32_e32 vcc, s27, v18
	v_sub_u32_e32 v19, v15, v14
	v_add_u32_e32 v14, s31, v14
	v_sub_u32_e32 v17, v15, v26
	s_and_b64 s[56:57], vcc, s[42:43]
	s_and_b64 s[58:59], vcc, s[4:5]
	;; [unrolled: 1-line block ×5, first 2 shown]
	v_cmp_gt_i32_e32 vcc, s27, v19
	v_sub_u32_e32 v14, v15, v14
	v_cmp_gt_i32_e64 s[16:17], s27, v17
	s_and_b64 s[66:67], vcc, s[42:43]
	s_and_b64 s[68:69], vcc, s[4:5]
	;; [unrolled: 1-line block ×5, first 2 shown]
	v_cmp_gt_i32_e32 vcc, s27, v14
	s_and_b64 s[14:15], s[16:17], s[12:13]
	s_and_b64 s[80:81], vcc, s[12:13]
	s_xor_b64 s[12:13], s[46:47], -1
	s_xor_b64 s[46:47], s[56:57], -1
	s_xor_b64 s[56:57], s[66:67], -1
	v_ashrrev_i32_e32 v15, 31, v12
	v_readlane_b32 s66, v43, 2
	v_xor_b32_e32 v15, s66, v15
	v_xor_b32_e32 v13, v13, v15
	v_sub_u32_e32 v13, v13, v15
	v_mul_lo_u32 v15, v13, s21
	v_mul_lo_u32 v13, v13, s23
	s_and_b64 s[10:11], s[16:17], s[8:9]
	s_and_b64 s[94:95], vcc, s[8:9]
	v_sub_u32_e32 v37, v12, v15
	s_xor_b64 s[8:9], s[14:15], -1
	s_xor_b64 s[14:15], s[48:49], -1
	s_xor_b64 s[48:49], s[58:59], -1
	s_xor_b64 s[58:59], s[68:69], -1
	v_mad_u64_u32 v[12:13], s[68:69], v37, s22, v[13:14]
	s_and_b64 s[76:77], vcc, s[42:43]
	s_and_b64 s[92:93], vcc, s[4:5]
	v_mul_lo_u32 v27, s27, v12
	s_and_b64 s[84:85], vcc, s[2:3]
	v_cmp_gt_i32_e32 vcc, 0, v17
	s_and_b64 s[44:45], s[16:17], s[42:43]
	v_add3_u32 v12, s86, v25, v27
	v_add3_u32 v13, s88, v25, v27
	;; [unrolled: 1-line block ×5, first 2 shown]
	s_and_b64 s[6:7], s[16:17], s[4:5]
	s_and_b64 s[16:17], s[16:17], s[2:3]
	v_sub_u32_e32 v12, v12, v26
	v_sub_u32_e32 v13, v13, v26
	;; [unrolled: 1-line block ×5, first 2 shown]
	s_xor_b64 s[2:3], s[44:45], -1
	s_xor_b64 s[4:5], s[6:7], -1
	;; [unrolled: 1-line block ×4, first 2 shown]
	v_sub_u32_e32 v12, v12, v3
	v_sub_u32_e32 v13, v13, v3
	;; [unrolled: 1-line block ×5, first 2 shown]
	s_nor_b64 s[2:3], vcc, s[2:3]
	s_nor_b64 s[4:5], vcc, s[4:5]
	s_nor_b64 s[6:7], vcc, s[6:7]
	s_nor_b64 s[8:9], vcc, s[8:9]
	s_nor_b64 s[10:11], vcc, s[10:11]
	v_cmp_gt_i32_e32 vcc, 0, v16
	s_xor_b64 s[16:17], s[50:51], -1
	s_xor_b64 s[42:43], s[52:53], -1
	;; [unrolled: 1-line block ×4, first 2 shown]
	v_mul_lo_u32 v30, s26, v12
	v_mul_lo_u32 v31, s26, v13
	;; [unrolled: 1-line block ×5, first 2 shown]
	s_mul_i32 s76, s83, s22
	s_nor_b64 s[12:13], vcc, s[12:13]
	s_nor_b64 s[14:15], vcc, s[14:15]
	;; [unrolled: 1-line block ×5, first 2 shown]
	v_cmp_gt_i32_e32 vcc, 0, v18
	s_xor_b64 s[50:51], s[60:61], -1
	s_xor_b64 s[52:53], s[62:63], -1
	;; [unrolled: 1-line block ×3, first 2 shown]
	v_mul_lo_u32 v3, s76, v37
	s_nor_b64 s[46:47], vcc, s[46:47]
	s_nor_b64 s[48:49], vcc, s[48:49]
	;; [unrolled: 1-line block ×5, first 2 shown]
	v_cmp_gt_i32_e32 vcc, 0, v19
	s_xor_b64 s[60:61], s[70:71], -1
	s_xor_b64 s[62:63], s[72:73], -1
	;; [unrolled: 1-line block ×3, first 2 shown]
	s_nor_b64 s[56:57], vcc, s[56:57]
	s_nor_b64 s[58:59], vcc, s[58:59]
	;; [unrolled: 1-line block ×5, first 2 shown]
	v_cmp_gt_i32_e32 vcc, 0, v14
	s_xor_b64 s[68:69], s[92:93], -1
	s_xor_b64 s[70:71], s[94:95], -1
	;; [unrolled: 1-line block ×4, first 2 shown]
	s_nor_b64 s[66:67], vcc, s[66:67]
	s_nor_b64 s[68:69], vcc, s[68:69]
	s_nor_b64 s[70:71], vcc, s[70:71]
	s_nor_b64 s[72:73], vcc, s[72:73]
	s_nor_b64 s[74:75], vcc, s[74:75]
	v_add_u32_e32 v12, v8, v30
	v_add_u32_e32 v13, v9, v30
	;; [unrolled: 1-line block ×25, first 2 shown]
	v_mov_b32_e32 v38, 0
	s_branch .LBB40_7
.LBB40_6:                               ;   in Loop: Header=BB40_7 Depth=2
	s_or_b64 exec, exec, s[76:77]
	s_add_i32 s91, s91, -1
	v_add_u32_e32 v3, s83, v3
	v_add_u32_e32 v12, s87, v12
	;; [unrolled: 1-line block ×25, first 2 shown]
	s_cmp_eq_u32 s91, 0
	v_add_u32_e32 v37, s87, v37
	s_cbranch_scc1 .LBB40_2
.LBB40_7:                               ;   Parent Loop BB40_4 Depth=1
                                        ; =>  This Inner Loop Header: Depth=2
	v_ashrrev_i32_e32 v4, 31, v3
	s_and_saveexec_b64 s[76:77], s[2:3]
	s_cbranch_execnz .LBB40_32
; %bb.8:                                ;   in Loop: Header=BB40_7 Depth=2
	s_or_b64 exec, exec, s[76:77]
	s_and_saveexec_b64 s[76:77], s[4:5]
	s_cbranch_execnz .LBB40_33
.LBB40_9:                               ;   in Loop: Header=BB40_7 Depth=2
	s_or_b64 exec, exec, s[76:77]
	s_and_saveexec_b64 s[76:77], s[6:7]
	s_cbranch_execnz .LBB40_34
.LBB40_10:                              ;   in Loop: Header=BB40_7 Depth=2
	s_or_b64 exec, exec, s[76:77]
	s_and_saveexec_b64 s[76:77], s[8:9]
	s_cbranch_execnz .LBB40_35
.LBB40_11:                              ;   in Loop: Header=BB40_7 Depth=2
	s_or_b64 exec, exec, s[76:77]
	s_and_saveexec_b64 s[76:77], s[10:11]
	s_cbranch_execnz .LBB40_36
.LBB40_12:                              ;   in Loop: Header=BB40_7 Depth=2
	s_or_b64 exec, exec, s[76:77]
	s_and_saveexec_b64 s[76:77], s[12:13]
	s_cbranch_execnz .LBB40_37
.LBB40_13:                              ;   in Loop: Header=BB40_7 Depth=2
	s_or_b64 exec, exec, s[76:77]
	s_and_saveexec_b64 s[76:77], s[14:15]
	s_cbranch_execnz .LBB40_38
.LBB40_14:                              ;   in Loop: Header=BB40_7 Depth=2
	s_or_b64 exec, exec, s[76:77]
	s_and_saveexec_b64 s[76:77], s[16:17]
	s_cbranch_execnz .LBB40_39
.LBB40_15:                              ;   in Loop: Header=BB40_7 Depth=2
	s_or_b64 exec, exec, s[76:77]
	s_and_saveexec_b64 s[76:77], s[42:43]
	s_cbranch_execnz .LBB40_40
.LBB40_16:                              ;   in Loop: Header=BB40_7 Depth=2
	s_or_b64 exec, exec, s[76:77]
	s_and_saveexec_b64 s[76:77], s[44:45]
	s_cbranch_execnz .LBB40_41
.LBB40_17:                              ;   in Loop: Header=BB40_7 Depth=2
	s_or_b64 exec, exec, s[76:77]
	s_and_saveexec_b64 s[76:77], s[46:47]
	s_cbranch_execnz .LBB40_42
.LBB40_18:                              ;   in Loop: Header=BB40_7 Depth=2
	s_or_b64 exec, exec, s[76:77]
	s_and_saveexec_b64 s[76:77], s[48:49]
	s_cbranch_execnz .LBB40_43
.LBB40_19:                              ;   in Loop: Header=BB40_7 Depth=2
	s_or_b64 exec, exec, s[76:77]
	s_and_saveexec_b64 s[76:77], s[50:51]
	s_cbranch_execnz .LBB40_44
.LBB40_20:                              ;   in Loop: Header=BB40_7 Depth=2
	s_or_b64 exec, exec, s[76:77]
	s_and_saveexec_b64 s[76:77], s[52:53]
	s_cbranch_execnz .LBB40_45
.LBB40_21:                              ;   in Loop: Header=BB40_7 Depth=2
	s_or_b64 exec, exec, s[76:77]
	s_and_saveexec_b64 s[76:77], s[54:55]
	s_cbranch_execnz .LBB40_46
.LBB40_22:                              ;   in Loop: Header=BB40_7 Depth=2
	s_or_b64 exec, exec, s[76:77]
	s_and_saveexec_b64 s[76:77], s[56:57]
	s_cbranch_execnz .LBB40_47
.LBB40_23:                              ;   in Loop: Header=BB40_7 Depth=2
	s_or_b64 exec, exec, s[76:77]
	s_and_saveexec_b64 s[76:77], s[58:59]
	s_cbranch_execnz .LBB40_48
.LBB40_24:                              ;   in Loop: Header=BB40_7 Depth=2
	s_or_b64 exec, exec, s[76:77]
	s_and_saveexec_b64 s[76:77], s[60:61]
	s_cbranch_execnz .LBB40_49
.LBB40_25:                              ;   in Loop: Header=BB40_7 Depth=2
	s_or_b64 exec, exec, s[76:77]
	s_and_saveexec_b64 s[76:77], s[62:63]
	s_cbranch_execnz .LBB40_50
.LBB40_26:                              ;   in Loop: Header=BB40_7 Depth=2
	s_or_b64 exec, exec, s[76:77]
	s_and_saveexec_b64 s[76:77], s[64:65]
	s_cbranch_execnz .LBB40_51
.LBB40_27:                              ;   in Loop: Header=BB40_7 Depth=2
	s_or_b64 exec, exec, s[76:77]
	s_and_saveexec_b64 s[76:77], s[66:67]
	s_cbranch_execnz .LBB40_52
.LBB40_28:                              ;   in Loop: Header=BB40_7 Depth=2
	s_or_b64 exec, exec, s[76:77]
	s_and_saveexec_b64 s[76:77], s[68:69]
	s_cbranch_execnz .LBB40_53
.LBB40_29:                              ;   in Loop: Header=BB40_7 Depth=2
	s_or_b64 exec, exec, s[76:77]
	s_and_saveexec_b64 s[76:77], s[70:71]
	s_cbranch_execnz .LBB40_54
.LBB40_30:                              ;   in Loop: Header=BB40_7 Depth=2
	s_or_b64 exec, exec, s[76:77]
	s_and_saveexec_b64 s[76:77], s[72:73]
	s_cbranch_execnz .LBB40_55
.LBB40_31:                              ;   in Loop: Header=BB40_7 Depth=2
	s_or_b64 exec, exec, s[76:77]
	s_and_saveexec_b64 s[76:77], s[74:75]
	s_cbranch_execz .LBB40_6
	s_branch .LBB40_56
.LBB40_32:                              ;   in Loop: Header=BB40_7 Depth=2
	v_lshlrev_b64 v[40:41], 1, v[3:4]
	v_mov_b32_e32 v42, s39
	v_add_co_u32_e32 v40, vcc, s38, v40
	v_add_u32_e32 v39, v29, v37
	v_addc_co_u32_e32 v41, vcc, v42, v41, vcc
	global_load_ushort v41, v[40:41], off
	v_ashrrev_i32_e32 v40, 31, v39
	v_lshlrev_b64 v[39:40], 1, v[39:40]
	v_mov_b32_e32 v42, s35
	v_add_co_u32_e32 v39, vcc, s34, v39
	v_addc_co_u32_e32 v40, vcc, v42, v40, vcc
	global_load_ushort v39, v[39:40], off
	s_waitcnt vmcnt(0)
	v_fma_mix_f32 v38, v41, v39, v38 op_sel_hi:[1,1,0]
	s_or_b64 exec, exec, s[76:77]
	s_and_saveexec_b64 s[76:77], s[4:5]
	s_cbranch_execz .LBB40_9
.LBB40_33:                              ;   in Loop: Header=BB40_7 Depth=2
	v_lshlrev_b64 v[40:41], 1, v[3:4]
	v_mov_b32_e32 v42, s39
	v_add_co_u32_e32 v40, vcc, s38, v40
	v_add_u32_e32 v39, v29, v36
	v_addc_co_u32_e32 v41, vcc, v42, v41, vcc
	global_load_ushort v41, v[40:41], off offset:2
	v_ashrrev_i32_e32 v40, 31, v39
	v_lshlrev_b64 v[39:40], 1, v[39:40]
	v_mov_b32_e32 v42, s35
	v_add_co_u32_e32 v39, vcc, s34, v39
	v_addc_co_u32_e32 v40, vcc, v42, v40, vcc
	global_load_ushort v39, v[39:40], off
	s_waitcnt vmcnt(0)
	v_fma_mix_f32 v38, v41, v39, v38 op_sel_hi:[1,1,0]
	s_or_b64 exec, exec, s[76:77]
	s_and_saveexec_b64 s[76:77], s[6:7]
	s_cbranch_execz .LBB40_10
.LBB40_34:                              ;   in Loop: Header=BB40_7 Depth=2
	v_lshlrev_b64 v[40:41], 1, v[3:4]
	v_mov_b32_e32 v42, s39
	v_add_co_u32_e32 v40, vcc, s38, v40
	v_add_u32_e32 v39, v29, v35
	v_addc_co_u32_e32 v41, vcc, v42, v41, vcc
	global_load_ushort v41, v[40:41], off offset:4
	v_ashrrev_i32_e32 v40, 31, v39
	v_lshlrev_b64 v[39:40], 1, v[39:40]
	v_mov_b32_e32 v42, s35
	v_add_co_u32_e32 v39, vcc, s34, v39
	v_addc_co_u32_e32 v40, vcc, v42, v40, vcc
	global_load_ushort v39, v[39:40], off
	s_waitcnt vmcnt(0)
	v_fma_mix_f32 v38, v41, v39, v38 op_sel_hi:[1,1,0]
	s_or_b64 exec, exec, s[76:77]
	s_and_saveexec_b64 s[76:77], s[8:9]
	s_cbranch_execz .LBB40_11
.LBB40_35:                              ;   in Loop: Header=BB40_7 Depth=2
	v_lshlrev_b64 v[40:41], 1, v[3:4]
	v_mov_b32_e32 v42, s39
	v_add_co_u32_e32 v40, vcc, s38, v40
	v_add_u32_e32 v39, v29, v34
	v_addc_co_u32_e32 v41, vcc, v42, v41, vcc
	global_load_ushort v41, v[40:41], off offset:6
	v_ashrrev_i32_e32 v40, 31, v39
	v_lshlrev_b64 v[39:40], 1, v[39:40]
	v_mov_b32_e32 v42, s35
	v_add_co_u32_e32 v39, vcc, s34, v39
	v_addc_co_u32_e32 v40, vcc, v42, v40, vcc
	global_load_ushort v39, v[39:40], off
	s_waitcnt vmcnt(0)
	v_fma_mix_f32 v38, v41, v39, v38 op_sel_hi:[1,1,0]
	s_or_b64 exec, exec, s[76:77]
	s_and_saveexec_b64 s[76:77], s[10:11]
	s_cbranch_execz .LBB40_12
.LBB40_36:                              ;   in Loop: Header=BB40_7 Depth=2
	v_lshlrev_b64 v[40:41], 1, v[3:4]
	v_mov_b32_e32 v42, s39
	v_add_co_u32_e32 v40, vcc, s38, v40
	v_add_u32_e32 v39, v29, v28
	v_addc_co_u32_e32 v41, vcc, v42, v41, vcc
	global_load_ushort v41, v[40:41], off offset:8
	v_ashrrev_i32_e32 v40, 31, v39
	v_lshlrev_b64 v[39:40], 1, v[39:40]
	v_mov_b32_e32 v42, s35
	v_add_co_u32_e32 v39, vcc, s34, v39
	v_addc_co_u32_e32 v40, vcc, v42, v40, vcc
	global_load_ushort v39, v[39:40], off
	s_waitcnt vmcnt(0)
	v_fma_mix_f32 v38, v41, v39, v38 op_sel_hi:[1,1,0]
	s_or_b64 exec, exec, s[76:77]
	s_and_saveexec_b64 s[76:77], s[12:13]
	s_cbranch_execz .LBB40_13
.LBB40_37:                              ;   in Loop: Header=BB40_7 Depth=2
	v_lshlrev_b64 v[40:41], 1, v[3:4]
	v_mov_b32_e32 v42, s39
	v_add_co_u32_e32 v40, vcc, s38, v40
	v_add_u32_e32 v39, v29, v33
	v_addc_co_u32_e32 v41, vcc, v42, v41, vcc
	global_load_ushort v41, v[40:41], off offset:10
	v_ashrrev_i32_e32 v40, 31, v39
	v_lshlrev_b64 v[39:40], 1, v[39:40]
	v_mov_b32_e32 v42, s35
	v_add_co_u32_e32 v39, vcc, s34, v39
	v_addc_co_u32_e32 v40, vcc, v42, v40, vcc
	global_load_ushort v39, v[39:40], off
	s_waitcnt vmcnt(0)
	v_fma_mix_f32 v38, v41, v39, v38 op_sel_hi:[1,1,0]
	s_or_b64 exec, exec, s[76:77]
	s_and_saveexec_b64 s[76:77], s[14:15]
	s_cbranch_execz .LBB40_14
.LBB40_38:                              ;   in Loop: Header=BB40_7 Depth=2
	v_lshlrev_b64 v[40:41], 1, v[3:4]
	v_mov_b32_e32 v42, s39
	v_add_co_u32_e32 v40, vcc, s38, v40
	v_add_u32_e32 v39, v29, v27
	v_addc_co_u32_e32 v41, vcc, v42, v41, vcc
	global_load_ushort v41, v[40:41], off offset:12
	v_ashrrev_i32_e32 v40, 31, v39
	v_lshlrev_b64 v[39:40], 1, v[39:40]
	v_mov_b32_e32 v42, s35
	v_add_co_u32_e32 v39, vcc, s34, v39
	v_addc_co_u32_e32 v40, vcc, v42, v40, vcc
	global_load_ushort v39, v[39:40], off
	s_waitcnt vmcnt(0)
	v_fma_mix_f32 v38, v41, v39, v38 op_sel_hi:[1,1,0]
	s_or_b64 exec, exec, s[76:77]
	s_and_saveexec_b64 s[76:77], s[16:17]
	s_cbranch_execz .LBB40_15
.LBB40_39:                              ;   in Loop: Header=BB40_7 Depth=2
	v_lshlrev_b64 v[40:41], 1, v[3:4]
	v_mov_b32_e32 v42, s39
	v_add_co_u32_e32 v40, vcc, s38, v40
	v_add_u32_e32 v39, v29, v26
	v_addc_co_u32_e32 v41, vcc, v42, v41, vcc
	global_load_ushort v41, v[40:41], off offset:14
	v_ashrrev_i32_e32 v40, 31, v39
	v_lshlrev_b64 v[39:40], 1, v[39:40]
	v_mov_b32_e32 v42, s35
	v_add_co_u32_e32 v39, vcc, s34, v39
	v_addc_co_u32_e32 v40, vcc, v42, v40, vcc
	global_load_ushort v39, v[39:40], off
	s_waitcnt vmcnt(0)
	v_fma_mix_f32 v38, v41, v39, v38 op_sel_hi:[1,1,0]
	s_or_b64 exec, exec, s[76:77]
	s_and_saveexec_b64 s[76:77], s[42:43]
	s_cbranch_execz .LBB40_16
.LBB40_40:                              ;   in Loop: Header=BB40_7 Depth=2
	v_lshlrev_b64 v[40:41], 1, v[3:4]
	v_mov_b32_e32 v42, s39
	v_add_co_u32_e32 v40, vcc, s38, v40
	v_add_u32_e32 v39, v29, v25
	v_addc_co_u32_e32 v41, vcc, v42, v41, vcc
	global_load_ushort v41, v[40:41], off offset:16
	v_ashrrev_i32_e32 v40, 31, v39
	v_lshlrev_b64 v[39:40], 1, v[39:40]
	v_mov_b32_e32 v42, s35
	v_add_co_u32_e32 v39, vcc, s34, v39
	v_addc_co_u32_e32 v40, vcc, v42, v40, vcc
	global_load_ushort v39, v[39:40], off
	s_waitcnt vmcnt(0)
	v_fma_mix_f32 v38, v41, v39, v38 op_sel_hi:[1,1,0]
	s_or_b64 exec, exec, s[76:77]
	s_and_saveexec_b64 s[76:77], s[44:45]
	s_cbranch_execz .LBB40_17
.LBB40_41:                              ;   in Loop: Header=BB40_7 Depth=2
	v_lshlrev_b64 v[40:41], 1, v[3:4]
	v_mov_b32_e32 v42, s39
	v_add_co_u32_e32 v40, vcc, s38, v40
	v_add_u32_e32 v39, v29, v24
	v_addc_co_u32_e32 v41, vcc, v42, v41, vcc
	global_load_ushort v41, v[40:41], off offset:18
	v_ashrrev_i32_e32 v40, 31, v39
	v_lshlrev_b64 v[39:40], 1, v[39:40]
	v_mov_b32_e32 v42, s35
	v_add_co_u32_e32 v39, vcc, s34, v39
	v_addc_co_u32_e32 v40, vcc, v42, v40, vcc
	global_load_ushort v39, v[39:40], off
	s_waitcnt vmcnt(0)
	v_fma_mix_f32 v38, v41, v39, v38 op_sel_hi:[1,1,0]
	s_or_b64 exec, exec, s[76:77]
	s_and_saveexec_b64 s[76:77], s[46:47]
	s_cbranch_execz .LBB40_18
.LBB40_42:                              ;   in Loop: Header=BB40_7 Depth=2
	v_lshlrev_b64 v[40:41], 1, v[3:4]
	v_mov_b32_e32 v42, s39
	v_add_co_u32_e32 v40, vcc, s38, v40
	v_add_u32_e32 v39, v29, v32
	v_addc_co_u32_e32 v41, vcc, v42, v41, vcc
	global_load_ushort v41, v[40:41], off offset:20
	v_ashrrev_i32_e32 v40, 31, v39
	v_lshlrev_b64 v[39:40], 1, v[39:40]
	v_mov_b32_e32 v42, s35
	v_add_co_u32_e32 v39, vcc, s34, v39
	v_addc_co_u32_e32 v40, vcc, v42, v40, vcc
	global_load_ushort v39, v[39:40], off
	s_waitcnt vmcnt(0)
	v_fma_mix_f32 v38, v41, v39, v38 op_sel_hi:[1,1,0]
	s_or_b64 exec, exec, s[76:77]
	s_and_saveexec_b64 s[76:77], s[48:49]
	s_cbranch_execz .LBB40_19
.LBB40_43:                              ;   in Loop: Header=BB40_7 Depth=2
	v_lshlrev_b64 v[40:41], 1, v[3:4]
	v_mov_b32_e32 v42, s39
	v_add_co_u32_e32 v40, vcc, s38, v40
	v_add_u32_e32 v39, v29, v23
	v_addc_co_u32_e32 v41, vcc, v42, v41, vcc
	global_load_ushort v41, v[40:41], off offset:22
	v_ashrrev_i32_e32 v40, 31, v39
	v_lshlrev_b64 v[39:40], 1, v[39:40]
	v_mov_b32_e32 v42, s35
	v_add_co_u32_e32 v39, vcc, s34, v39
	v_addc_co_u32_e32 v40, vcc, v42, v40, vcc
	global_load_ushort v39, v[39:40], off
	s_waitcnt vmcnt(0)
	v_fma_mix_f32 v38, v41, v39, v38 op_sel_hi:[1,1,0]
	s_or_b64 exec, exec, s[76:77]
	s_and_saveexec_b64 s[76:77], s[50:51]
	s_cbranch_execz .LBB40_20
.LBB40_44:                              ;   in Loop: Header=BB40_7 Depth=2
	v_lshlrev_b64 v[40:41], 1, v[3:4]
	v_mov_b32_e32 v42, s39
	v_add_co_u32_e32 v40, vcc, s38, v40
	v_add_u32_e32 v39, v29, v22
	v_addc_co_u32_e32 v41, vcc, v42, v41, vcc
	global_load_ushort v41, v[40:41], off offset:24
	v_ashrrev_i32_e32 v40, 31, v39
	v_lshlrev_b64 v[39:40], 1, v[39:40]
	v_mov_b32_e32 v42, s35
	v_add_co_u32_e32 v39, vcc, s34, v39
	v_addc_co_u32_e32 v40, vcc, v42, v40, vcc
	global_load_ushort v39, v[39:40], off
	s_waitcnt vmcnt(0)
	v_fma_mix_f32 v38, v41, v39, v38 op_sel_hi:[1,1,0]
	s_or_b64 exec, exec, s[76:77]
	s_and_saveexec_b64 s[76:77], s[52:53]
	s_cbranch_execz .LBB40_21
.LBB40_45:                              ;   in Loop: Header=BB40_7 Depth=2
	v_lshlrev_b64 v[40:41], 1, v[3:4]
	v_mov_b32_e32 v42, s39
	v_add_co_u32_e32 v40, vcc, s38, v40
	v_add_u32_e32 v39, v29, v21
	v_addc_co_u32_e32 v41, vcc, v42, v41, vcc
	global_load_ushort v41, v[40:41], off offset:26
	v_ashrrev_i32_e32 v40, 31, v39
	v_lshlrev_b64 v[39:40], 1, v[39:40]
	v_mov_b32_e32 v42, s35
	v_add_co_u32_e32 v39, vcc, s34, v39
	v_addc_co_u32_e32 v40, vcc, v42, v40, vcc
	global_load_ushort v39, v[39:40], off
	s_waitcnt vmcnt(0)
	v_fma_mix_f32 v38, v41, v39, v38 op_sel_hi:[1,1,0]
	s_or_b64 exec, exec, s[76:77]
	s_and_saveexec_b64 s[76:77], s[54:55]
	s_cbranch_execz .LBB40_22
.LBB40_46:                              ;   in Loop: Header=BB40_7 Depth=2
	v_lshlrev_b64 v[40:41], 1, v[3:4]
	v_mov_b32_e32 v42, s39
	v_add_co_u32_e32 v40, vcc, s38, v40
	v_add_u32_e32 v39, v29, v20
	v_addc_co_u32_e32 v41, vcc, v42, v41, vcc
	global_load_ushort v41, v[40:41], off offset:28
	v_ashrrev_i32_e32 v40, 31, v39
	v_lshlrev_b64 v[39:40], 1, v[39:40]
	v_mov_b32_e32 v42, s35
	v_add_co_u32_e32 v39, vcc, s34, v39
	v_addc_co_u32_e32 v40, vcc, v42, v40, vcc
	global_load_ushort v39, v[39:40], off
	s_waitcnt vmcnt(0)
	v_fma_mix_f32 v38, v41, v39, v38 op_sel_hi:[1,1,0]
	s_or_b64 exec, exec, s[76:77]
	s_and_saveexec_b64 s[76:77], s[56:57]
	s_cbranch_execz .LBB40_23
.LBB40_47:                              ;   in Loop: Header=BB40_7 Depth=2
	v_lshlrev_b64 v[40:41], 1, v[3:4]
	v_mov_b32_e32 v42, s39
	v_add_co_u32_e32 v40, vcc, s38, v40
	v_add_u32_e32 v39, v29, v31
	v_addc_co_u32_e32 v41, vcc, v42, v41, vcc
	global_load_ushort v41, v[40:41], off offset:30
	v_ashrrev_i32_e32 v40, 31, v39
	v_lshlrev_b64 v[39:40], 1, v[39:40]
	v_mov_b32_e32 v42, s35
	v_add_co_u32_e32 v39, vcc, s34, v39
	v_addc_co_u32_e32 v40, vcc, v42, v40, vcc
	global_load_ushort v39, v[39:40], off
	s_waitcnt vmcnt(0)
	v_fma_mix_f32 v38, v41, v39, v38 op_sel_hi:[1,1,0]
	s_or_b64 exec, exec, s[76:77]
	s_and_saveexec_b64 s[76:77], s[58:59]
	s_cbranch_execz .LBB40_24
.LBB40_48:                              ;   in Loop: Header=BB40_7 Depth=2
	v_lshlrev_b64 v[40:41], 1, v[3:4]
	v_mov_b32_e32 v42, s39
	v_add_co_u32_e32 v40, vcc, s38, v40
	v_add_u32_e32 v39, v29, v19
	v_addc_co_u32_e32 v41, vcc, v42, v41, vcc
	global_load_ushort v41, v[40:41], off offset:32
	v_ashrrev_i32_e32 v40, 31, v39
	v_lshlrev_b64 v[39:40], 1, v[39:40]
	v_mov_b32_e32 v42, s35
	v_add_co_u32_e32 v39, vcc, s34, v39
	v_addc_co_u32_e32 v40, vcc, v42, v40, vcc
	global_load_ushort v39, v[39:40], off
	s_waitcnt vmcnt(0)
	v_fma_mix_f32 v38, v41, v39, v38 op_sel_hi:[1,1,0]
	s_or_b64 exec, exec, s[76:77]
	s_and_saveexec_b64 s[76:77], s[60:61]
	s_cbranch_execz .LBB40_25
.LBB40_49:                              ;   in Loop: Header=BB40_7 Depth=2
	v_lshlrev_b64 v[40:41], 1, v[3:4]
	v_mov_b32_e32 v42, s39
	v_add_co_u32_e32 v40, vcc, s38, v40
	v_add_u32_e32 v39, v29, v18
	v_addc_co_u32_e32 v41, vcc, v42, v41, vcc
	global_load_ushort v41, v[40:41], off offset:34
	v_ashrrev_i32_e32 v40, 31, v39
	v_lshlrev_b64 v[39:40], 1, v[39:40]
	v_mov_b32_e32 v42, s35
	v_add_co_u32_e32 v39, vcc, s34, v39
	v_addc_co_u32_e32 v40, vcc, v42, v40, vcc
	global_load_ushort v39, v[39:40], off
	s_waitcnt vmcnt(0)
	v_fma_mix_f32 v38, v41, v39, v38 op_sel_hi:[1,1,0]
	s_or_b64 exec, exec, s[76:77]
	s_and_saveexec_b64 s[76:77], s[62:63]
	s_cbranch_execz .LBB40_26
.LBB40_50:                              ;   in Loop: Header=BB40_7 Depth=2
	v_lshlrev_b64 v[40:41], 1, v[3:4]
	v_mov_b32_e32 v42, s39
	v_add_co_u32_e32 v40, vcc, s38, v40
	v_add_u32_e32 v39, v29, v17
	v_addc_co_u32_e32 v41, vcc, v42, v41, vcc
	global_load_ushort v41, v[40:41], off offset:36
	v_ashrrev_i32_e32 v40, 31, v39
	v_lshlrev_b64 v[39:40], 1, v[39:40]
	v_mov_b32_e32 v42, s35
	v_add_co_u32_e32 v39, vcc, s34, v39
	v_addc_co_u32_e32 v40, vcc, v42, v40, vcc
	global_load_ushort v39, v[39:40], off
	s_waitcnt vmcnt(0)
	v_fma_mix_f32 v38, v41, v39, v38 op_sel_hi:[1,1,0]
	s_or_b64 exec, exec, s[76:77]
	s_and_saveexec_b64 s[76:77], s[64:65]
	s_cbranch_execz .LBB40_27
.LBB40_51:                              ;   in Loop: Header=BB40_7 Depth=2
	v_lshlrev_b64 v[40:41], 1, v[3:4]
	v_mov_b32_e32 v42, s39
	v_add_co_u32_e32 v40, vcc, s38, v40
	v_add_u32_e32 v39, v29, v16
	v_addc_co_u32_e32 v41, vcc, v42, v41, vcc
	global_load_ushort v41, v[40:41], off offset:38
	v_ashrrev_i32_e32 v40, 31, v39
	v_lshlrev_b64 v[39:40], 1, v[39:40]
	v_mov_b32_e32 v42, s35
	v_add_co_u32_e32 v39, vcc, s34, v39
	v_addc_co_u32_e32 v40, vcc, v42, v40, vcc
	global_load_ushort v39, v[39:40], off
	s_waitcnt vmcnt(0)
	v_fma_mix_f32 v38, v41, v39, v38 op_sel_hi:[1,1,0]
	s_or_b64 exec, exec, s[76:77]
	s_and_saveexec_b64 s[76:77], s[66:67]
	s_cbranch_execz .LBB40_28
.LBB40_52:                              ;   in Loop: Header=BB40_7 Depth=2
	v_lshlrev_b64 v[40:41], 1, v[3:4]
	v_mov_b32_e32 v42, s39
	v_add_co_u32_e32 v40, vcc, s38, v40
	v_add_u32_e32 v39, v29, v30
	v_addc_co_u32_e32 v41, vcc, v42, v41, vcc
	global_load_ushort v41, v[40:41], off offset:40
	v_ashrrev_i32_e32 v40, 31, v39
	v_lshlrev_b64 v[39:40], 1, v[39:40]
	v_mov_b32_e32 v42, s35
	v_add_co_u32_e32 v39, vcc, s34, v39
	v_addc_co_u32_e32 v40, vcc, v42, v40, vcc
	global_load_ushort v39, v[39:40], off
	s_waitcnt vmcnt(0)
	v_fma_mix_f32 v38, v41, v39, v38 op_sel_hi:[1,1,0]
	s_or_b64 exec, exec, s[76:77]
	s_and_saveexec_b64 s[76:77], s[68:69]
	s_cbranch_execz .LBB40_29
.LBB40_53:                              ;   in Loop: Header=BB40_7 Depth=2
	v_lshlrev_b64 v[40:41], 1, v[3:4]
	v_mov_b32_e32 v42, s39
	v_add_co_u32_e32 v40, vcc, s38, v40
	v_add_u32_e32 v39, v29, v15
	v_addc_co_u32_e32 v41, vcc, v42, v41, vcc
	global_load_ushort v41, v[40:41], off offset:42
	v_ashrrev_i32_e32 v40, 31, v39
	v_lshlrev_b64 v[39:40], 1, v[39:40]
	v_mov_b32_e32 v42, s35
	v_add_co_u32_e32 v39, vcc, s34, v39
	v_addc_co_u32_e32 v40, vcc, v42, v40, vcc
	global_load_ushort v39, v[39:40], off
	s_waitcnt vmcnt(0)
	v_fma_mix_f32 v38, v41, v39, v38 op_sel_hi:[1,1,0]
	s_or_b64 exec, exec, s[76:77]
	s_and_saveexec_b64 s[76:77], s[70:71]
	s_cbranch_execz .LBB40_30
.LBB40_54:                              ;   in Loop: Header=BB40_7 Depth=2
	v_lshlrev_b64 v[40:41], 1, v[3:4]
	v_mov_b32_e32 v42, s39
	v_add_co_u32_e32 v40, vcc, s38, v40
	v_add_u32_e32 v39, v29, v14
	v_addc_co_u32_e32 v41, vcc, v42, v41, vcc
	global_load_ushort v41, v[40:41], off offset:44
	v_ashrrev_i32_e32 v40, 31, v39
	v_lshlrev_b64 v[39:40], 1, v[39:40]
	v_mov_b32_e32 v42, s35
	v_add_co_u32_e32 v39, vcc, s34, v39
	v_addc_co_u32_e32 v40, vcc, v42, v40, vcc
	global_load_ushort v39, v[39:40], off
	s_waitcnt vmcnt(0)
	v_fma_mix_f32 v38, v41, v39, v38 op_sel_hi:[1,1,0]
	s_or_b64 exec, exec, s[76:77]
	s_and_saveexec_b64 s[76:77], s[72:73]
	s_cbranch_execz .LBB40_31
.LBB40_55:                              ;   in Loop: Header=BB40_7 Depth=2
	v_lshlrev_b64 v[40:41], 1, v[3:4]
	v_mov_b32_e32 v42, s39
	v_add_co_u32_e32 v40, vcc, s38, v40
	v_add_u32_e32 v39, v29, v13
	v_addc_co_u32_e32 v41, vcc, v42, v41, vcc
	global_load_ushort v41, v[40:41], off offset:46
	v_ashrrev_i32_e32 v40, 31, v39
	v_lshlrev_b64 v[39:40], 1, v[39:40]
	v_mov_b32_e32 v42, s35
	v_add_co_u32_e32 v39, vcc, s34, v39
	v_addc_co_u32_e32 v40, vcc, v42, v40, vcc
	global_load_ushort v39, v[39:40], off
	s_waitcnt vmcnt(0)
	v_fma_mix_f32 v38, v41, v39, v38 op_sel_hi:[1,1,0]
	s_or_b64 exec, exec, s[76:77]
	s_and_saveexec_b64 s[76:77], s[74:75]
	s_cbranch_execz .LBB40_6
.LBB40_56:                              ;   in Loop: Header=BB40_7 Depth=2
	v_lshlrev_b64 v[40:41], 1, v[3:4]
	v_mov_b32_e32 v4, s39
	v_add_co_u32_e32 v40, vcc, s38, v40
	v_add_u32_e32 v39, v29, v12
	v_addc_co_u32_e32 v41, vcc, v4, v41, vcc
	global_load_ushort v4, v[40:41], off offset:48
	v_ashrrev_i32_e32 v40, 31, v39
	v_lshlrev_b64 v[39:40], 1, v[39:40]
	v_mov_b32_e32 v41, s35
	v_add_co_u32_e32 v39, vcc, s34, v39
	v_addc_co_u32_e32 v40, vcc, v41, v40, vcc
	global_load_ushort v39, v[39:40], off
	s_waitcnt vmcnt(0)
	v_fma_mix_f32 v38, v4, v39, v38 op_sel_hi:[1,1,0]
	s_branch .LBB40_6
.LBB40_57:                              ;   in Loop: Header=BB40_4 Depth=1
	v_mov_b32_e32 v3, 0
	s_branch .LBB40_3
.LBB40_58:
	s_endpgm
	.section	.rodata,"a",@progbits
	.p2align	6, 0x0
	.amdhsa_kernel _ZN2at6native12_GLOBAL__N_132conv_depthwise2d_backward_kernelILi5ELi1EN3c104HalfEiEEvN5torch10headeronly6detail27GenericPackedTensorAccessorINS7_14TensorAccessorINS3_8ArrayRefIlEEKT1_Lm3ENS6_16DefaultPtrTraitsEiEENS_6detail16IndexBoundsCheckILm4EiEESD_Lm4ESE_iEENS8_INS9_ISB_SC_Lm3ESE_iEESI_SC_Lm4ESE_iEESJ_T2_iiiiiiiiiiiiiii
		.amdhsa_group_segment_fixed_size 0
		.amdhsa_private_segment_fixed_size 0
		.amdhsa_kernarg_size 440
		.amdhsa_user_sgpr_count 6
		.amdhsa_user_sgpr_private_segment_buffer 1
		.amdhsa_user_sgpr_dispatch_ptr 0
		.amdhsa_user_sgpr_queue_ptr 0
		.amdhsa_user_sgpr_kernarg_segment_ptr 1
		.amdhsa_user_sgpr_dispatch_id 0
		.amdhsa_user_sgpr_flat_scratch_init 0
		.amdhsa_user_sgpr_private_segment_size 0
		.amdhsa_uses_dynamic_stack 0
		.amdhsa_system_sgpr_private_segment_wavefront_offset 0
		.amdhsa_system_sgpr_workgroup_id_x 1
		.amdhsa_system_sgpr_workgroup_id_y 0
		.amdhsa_system_sgpr_workgroup_id_z 0
		.amdhsa_system_sgpr_workgroup_info 0
		.amdhsa_system_vgpr_workitem_id 0
		.amdhsa_next_free_vgpr 44
		.amdhsa_next_free_sgpr 96
		.amdhsa_reserve_vcc 1
		.amdhsa_reserve_flat_scratch 0
		.amdhsa_float_round_mode_32 0
		.amdhsa_float_round_mode_16_64 0
		.amdhsa_float_denorm_mode_32 3
		.amdhsa_float_denorm_mode_16_64 3
		.amdhsa_dx10_clamp 1
		.amdhsa_ieee_mode 1
		.amdhsa_fp16_overflow 0
		.amdhsa_exception_fp_ieee_invalid_op 0
		.amdhsa_exception_fp_denorm_src 0
		.amdhsa_exception_fp_ieee_div_zero 0
		.amdhsa_exception_fp_ieee_overflow 0
		.amdhsa_exception_fp_ieee_underflow 0
		.amdhsa_exception_fp_ieee_inexact 0
		.amdhsa_exception_int_div_zero 0
	.end_amdhsa_kernel
	.section	.text._ZN2at6native12_GLOBAL__N_132conv_depthwise2d_backward_kernelILi5ELi1EN3c104HalfEiEEvN5torch10headeronly6detail27GenericPackedTensorAccessorINS7_14TensorAccessorINS3_8ArrayRefIlEEKT1_Lm3ENS6_16DefaultPtrTraitsEiEENS_6detail16IndexBoundsCheckILm4EiEESD_Lm4ESE_iEENS8_INS9_ISB_SC_Lm3ESE_iEESI_SC_Lm4ESE_iEESJ_T2_iiiiiiiiiiiiiii,"axG",@progbits,_ZN2at6native12_GLOBAL__N_132conv_depthwise2d_backward_kernelILi5ELi1EN3c104HalfEiEEvN5torch10headeronly6detail27GenericPackedTensorAccessorINS7_14TensorAccessorINS3_8ArrayRefIlEEKT1_Lm3ENS6_16DefaultPtrTraitsEiEENS_6detail16IndexBoundsCheckILm4EiEESD_Lm4ESE_iEENS8_INS9_ISB_SC_Lm3ESE_iEESI_SC_Lm4ESE_iEESJ_T2_iiiiiiiiiiiiiii,comdat
.Lfunc_end40:
	.size	_ZN2at6native12_GLOBAL__N_132conv_depthwise2d_backward_kernelILi5ELi1EN3c104HalfEiEEvN5torch10headeronly6detail27GenericPackedTensorAccessorINS7_14TensorAccessorINS3_8ArrayRefIlEEKT1_Lm3ENS6_16DefaultPtrTraitsEiEENS_6detail16IndexBoundsCheckILm4EiEESD_Lm4ESE_iEENS8_INS9_ISB_SC_Lm3ESE_iEESI_SC_Lm4ESE_iEESJ_T2_iiiiiiiiiiiiiii, .Lfunc_end40-_ZN2at6native12_GLOBAL__N_132conv_depthwise2d_backward_kernelILi5ELi1EN3c104HalfEiEEvN5torch10headeronly6detail27GenericPackedTensorAccessorINS7_14TensorAccessorINS3_8ArrayRefIlEEKT1_Lm3ENS6_16DefaultPtrTraitsEiEENS_6detail16IndexBoundsCheckILm4EiEESD_Lm4ESE_iEENS8_INS9_ISB_SC_Lm3ESE_iEESI_SC_Lm4ESE_iEESJ_T2_iiiiiiiiiiiiiii
                                        ; -- End function
	.set _ZN2at6native12_GLOBAL__N_132conv_depthwise2d_backward_kernelILi5ELi1EN3c104HalfEiEEvN5torch10headeronly6detail27GenericPackedTensorAccessorINS7_14TensorAccessorINS3_8ArrayRefIlEEKT1_Lm3ENS6_16DefaultPtrTraitsEiEENS_6detail16IndexBoundsCheckILm4EiEESD_Lm4ESE_iEENS8_INS9_ISB_SC_Lm3ESE_iEESI_SC_Lm4ESE_iEESJ_T2_iiiiiiiiiiiiiii.num_vgpr, 44
	.set _ZN2at6native12_GLOBAL__N_132conv_depthwise2d_backward_kernelILi5ELi1EN3c104HalfEiEEvN5torch10headeronly6detail27GenericPackedTensorAccessorINS7_14TensorAccessorINS3_8ArrayRefIlEEKT1_Lm3ENS6_16DefaultPtrTraitsEiEENS_6detail16IndexBoundsCheckILm4EiEESD_Lm4ESE_iEENS8_INS9_ISB_SC_Lm3ESE_iEESI_SC_Lm4ESE_iEESJ_T2_iiiiiiiiiiiiiii.num_agpr, 0
	.set _ZN2at6native12_GLOBAL__N_132conv_depthwise2d_backward_kernelILi5ELi1EN3c104HalfEiEEvN5torch10headeronly6detail27GenericPackedTensorAccessorINS7_14TensorAccessorINS3_8ArrayRefIlEEKT1_Lm3ENS6_16DefaultPtrTraitsEiEENS_6detail16IndexBoundsCheckILm4EiEESD_Lm4ESE_iEENS8_INS9_ISB_SC_Lm3ESE_iEESI_SC_Lm4ESE_iEESJ_T2_iiiiiiiiiiiiiii.numbered_sgpr, 96
	.set _ZN2at6native12_GLOBAL__N_132conv_depthwise2d_backward_kernelILi5ELi1EN3c104HalfEiEEvN5torch10headeronly6detail27GenericPackedTensorAccessorINS7_14TensorAccessorINS3_8ArrayRefIlEEKT1_Lm3ENS6_16DefaultPtrTraitsEiEENS_6detail16IndexBoundsCheckILm4EiEESD_Lm4ESE_iEENS8_INS9_ISB_SC_Lm3ESE_iEESI_SC_Lm4ESE_iEESJ_T2_iiiiiiiiiiiiiii.num_named_barrier, 0
	.set _ZN2at6native12_GLOBAL__N_132conv_depthwise2d_backward_kernelILi5ELi1EN3c104HalfEiEEvN5torch10headeronly6detail27GenericPackedTensorAccessorINS7_14TensorAccessorINS3_8ArrayRefIlEEKT1_Lm3ENS6_16DefaultPtrTraitsEiEENS_6detail16IndexBoundsCheckILm4EiEESD_Lm4ESE_iEENS8_INS9_ISB_SC_Lm3ESE_iEESI_SC_Lm4ESE_iEESJ_T2_iiiiiiiiiiiiiii.private_seg_size, 0
	.set _ZN2at6native12_GLOBAL__N_132conv_depthwise2d_backward_kernelILi5ELi1EN3c104HalfEiEEvN5torch10headeronly6detail27GenericPackedTensorAccessorINS7_14TensorAccessorINS3_8ArrayRefIlEEKT1_Lm3ENS6_16DefaultPtrTraitsEiEENS_6detail16IndexBoundsCheckILm4EiEESD_Lm4ESE_iEENS8_INS9_ISB_SC_Lm3ESE_iEESI_SC_Lm4ESE_iEESJ_T2_iiiiiiiiiiiiiii.uses_vcc, 1
	.set _ZN2at6native12_GLOBAL__N_132conv_depthwise2d_backward_kernelILi5ELi1EN3c104HalfEiEEvN5torch10headeronly6detail27GenericPackedTensorAccessorINS7_14TensorAccessorINS3_8ArrayRefIlEEKT1_Lm3ENS6_16DefaultPtrTraitsEiEENS_6detail16IndexBoundsCheckILm4EiEESD_Lm4ESE_iEENS8_INS9_ISB_SC_Lm3ESE_iEESI_SC_Lm4ESE_iEESJ_T2_iiiiiiiiiiiiiii.uses_flat_scratch, 0
	.set _ZN2at6native12_GLOBAL__N_132conv_depthwise2d_backward_kernelILi5ELi1EN3c104HalfEiEEvN5torch10headeronly6detail27GenericPackedTensorAccessorINS7_14TensorAccessorINS3_8ArrayRefIlEEKT1_Lm3ENS6_16DefaultPtrTraitsEiEENS_6detail16IndexBoundsCheckILm4EiEESD_Lm4ESE_iEENS8_INS9_ISB_SC_Lm3ESE_iEESI_SC_Lm4ESE_iEESJ_T2_iiiiiiiiiiiiiii.has_dyn_sized_stack, 0
	.set _ZN2at6native12_GLOBAL__N_132conv_depthwise2d_backward_kernelILi5ELi1EN3c104HalfEiEEvN5torch10headeronly6detail27GenericPackedTensorAccessorINS7_14TensorAccessorINS3_8ArrayRefIlEEKT1_Lm3ENS6_16DefaultPtrTraitsEiEENS_6detail16IndexBoundsCheckILm4EiEESD_Lm4ESE_iEENS8_INS9_ISB_SC_Lm3ESE_iEESI_SC_Lm4ESE_iEESJ_T2_iiiiiiiiiiiiiii.has_recursion, 0
	.set _ZN2at6native12_GLOBAL__N_132conv_depthwise2d_backward_kernelILi5ELi1EN3c104HalfEiEEvN5torch10headeronly6detail27GenericPackedTensorAccessorINS7_14TensorAccessorINS3_8ArrayRefIlEEKT1_Lm3ENS6_16DefaultPtrTraitsEiEENS_6detail16IndexBoundsCheckILm4EiEESD_Lm4ESE_iEENS8_INS9_ISB_SC_Lm3ESE_iEESI_SC_Lm4ESE_iEESJ_T2_iiiiiiiiiiiiiii.has_indirect_call, 0
	.section	.AMDGPU.csdata,"",@progbits
; Kernel info:
; codeLenInByte = 4208
; TotalNumSgprs: 100
; NumVgprs: 44
; ScratchSize: 0
; MemoryBound: 0
; FloatMode: 240
; IeeeMode: 1
; LDSByteSize: 0 bytes/workgroup (compile time only)
; SGPRBlocks: 12
; VGPRBlocks: 10
; NumSGPRsForWavesPerEU: 100
; NumVGPRsForWavesPerEU: 44
; Occupancy: 5
; WaveLimiterHint : 0
; COMPUTE_PGM_RSRC2:SCRATCH_EN: 0
; COMPUTE_PGM_RSRC2:USER_SGPR: 6
; COMPUTE_PGM_RSRC2:TRAP_HANDLER: 0
; COMPUTE_PGM_RSRC2:TGID_X_EN: 1
; COMPUTE_PGM_RSRC2:TGID_Y_EN: 0
; COMPUTE_PGM_RSRC2:TGID_Z_EN: 0
; COMPUTE_PGM_RSRC2:TIDIG_COMP_CNT: 0
	.section	.text._ZN2at6native12_GLOBAL__N_132conv_depthwise2d_backward_kernelILi5ELi2EN3c104HalfEiEEvN5torch10headeronly6detail27GenericPackedTensorAccessorINS7_14TensorAccessorINS3_8ArrayRefIlEEKT1_Lm3ENS6_16DefaultPtrTraitsEiEENS_6detail16IndexBoundsCheckILm4EiEESD_Lm4ESE_iEENS8_INS9_ISB_SC_Lm3ESE_iEESI_SC_Lm4ESE_iEESJ_T2_iiiiiiiiiiiiiii,"axG",@progbits,_ZN2at6native12_GLOBAL__N_132conv_depthwise2d_backward_kernelILi5ELi2EN3c104HalfEiEEvN5torch10headeronly6detail27GenericPackedTensorAccessorINS7_14TensorAccessorINS3_8ArrayRefIlEEKT1_Lm3ENS6_16DefaultPtrTraitsEiEENS_6detail16IndexBoundsCheckILm4EiEESD_Lm4ESE_iEENS8_INS9_ISB_SC_Lm3ESE_iEESI_SC_Lm4ESE_iEESJ_T2_iiiiiiiiiiiiiii,comdat
	.globl	_ZN2at6native12_GLOBAL__N_132conv_depthwise2d_backward_kernelILi5ELi2EN3c104HalfEiEEvN5torch10headeronly6detail27GenericPackedTensorAccessorINS7_14TensorAccessorINS3_8ArrayRefIlEEKT1_Lm3ENS6_16DefaultPtrTraitsEiEENS_6detail16IndexBoundsCheckILm4EiEESD_Lm4ESE_iEENS8_INS9_ISB_SC_Lm3ESE_iEESI_SC_Lm4ESE_iEESJ_T2_iiiiiiiiiiiiiii ; -- Begin function _ZN2at6native12_GLOBAL__N_132conv_depthwise2d_backward_kernelILi5ELi2EN3c104HalfEiEEvN5torch10headeronly6detail27GenericPackedTensorAccessorINS7_14TensorAccessorINS3_8ArrayRefIlEEKT1_Lm3ENS6_16DefaultPtrTraitsEiEENS_6detail16IndexBoundsCheckILm4EiEESD_Lm4ESE_iEENS8_INS9_ISB_SC_Lm3ESE_iEESI_SC_Lm4ESE_iEESJ_T2_iiiiiiiiiiiiiii
	.p2align	8
	.type	_ZN2at6native12_GLOBAL__N_132conv_depthwise2d_backward_kernelILi5ELi2EN3c104HalfEiEEvN5torch10headeronly6detail27GenericPackedTensorAccessorINS7_14TensorAccessorINS3_8ArrayRefIlEEKT1_Lm3ENS6_16DefaultPtrTraitsEiEENS_6detail16IndexBoundsCheckILm4EiEESD_Lm4ESE_iEENS8_INS9_ISB_SC_Lm3ESE_iEESI_SC_Lm4ESE_iEESJ_T2_iiiiiiiiiiiiiii,@function
_ZN2at6native12_GLOBAL__N_132conv_depthwise2d_backward_kernelILi5ELi2EN3c104HalfEiEEvN5torch10headeronly6detail27GenericPackedTensorAccessorINS7_14TensorAccessorINS3_8ArrayRefIlEEKT1_Lm3ENS6_16DefaultPtrTraitsEiEENS_6detail16IndexBoundsCheckILm4EiEESD_Lm4ESE_iEENS8_INS9_ISB_SC_Lm3ESE_iEESI_SC_Lm4ESE_iEESJ_T2_iiiiiiiiiiiiiii: ; @_ZN2at6native12_GLOBAL__N_132conv_depthwise2d_backward_kernelILi5ELi2EN3c104HalfEiEEvN5torch10headeronly6detail27GenericPackedTensorAccessorINS7_14TensorAccessorINS3_8ArrayRefIlEEKT1_Lm3ENS6_16DefaultPtrTraitsEiEENS_6detail16IndexBoundsCheckILm4EiEESD_Lm4ESE_iEENS8_INS9_ISB_SC_Lm3ESE_iEESI_SC_Lm4ESE_iEESJ_T2_iiiiiiiiiiiiiii
; %bb.0:
	s_load_dword s2, s[4:5], 0xc4
	s_load_dwordx8 s[8:15], s[4:5], 0x78
	s_add_u32 s0, s4, 0xb8
	s_addc_u32 s1, s5, 0
	v_mov_b32_e32 v1, 0
	s_waitcnt lgkmcnt(0)
	s_and_b32 s2, s2, 0xffff
	v_mov_b32_e32 v2, s6
	v_mad_u64_u32 v[0:1], s[6:7], s2, v2, v[0:1]
	s_ashr_i32 s7, s8, 31
	s_mov_b32 s6, s8
	v_cmp_gt_i64_e32 vcc, s[6:7], v[0:1]
	s_and_saveexec_b64 s[16:17], vcc
	s_cbranch_execz .LBB41_58
; %bb.1:
	s_cmp_gt_i32 s10, 0
	s_cselect_b64 s[28:29], -1, 0
	s_abs_i32 s8, s12
	v_cvt_f32_u32_e32 v2, s8
	s_abs_i32 s33, s13
	v_cvt_f32_u32_e32 v3, s33
	s_abs_i32 s82, s9
	v_rcp_iflag_f32_e32 v2, v2
	v_cvt_f32_u32_e32 v4, s82
	v_rcp_iflag_f32_e32 v3, v3
	s_load_dwordx2 s[26:27], s[4:5], 0x98
	s_load_dwordx2 s[20:21], s[4:5], 0x0
	;; [unrolled: 1-line block ×4, first 2 shown]
	s_load_dword s3, s[0:1], 0x0
	v_mul_f32_e32 v2, 0x4f7ffffe, v2
	v_rcp_iflag_f32_e32 v4, v4
	v_cvt_u32_f32_e32 v2, v2
	v_mul_f32_e32 v3, 0x4f7ffffe, v3
	s_sub_i32 s0, 0, s8
	v_cvt_u32_f32_e32 v3, v3
	v_mul_f32_e32 v4, 0x4f7ffffe, v4
	v_mul_lo_u32 v5, s0, v2
	v_cvt_u32_f32_e32 v6, v4
	s_sub_i32 s0, 0, s33
	v_mul_lo_u32 v4, s0, v3
	s_sub_i32 s0, 0, s82
	v_mul_hi_u32 v5, v2, v5
	v_mul_lo_u32 v7, s0, v6
	v_mul_hi_u32 v8, v3, v4
	s_load_dwordx4 s[16:19], s[4:5], 0xa8
	v_add_u32_e32 v4, v2, v5
	v_mul_hi_u32 v2, v6, v7
	s_waitcnt lgkmcnt(0)
	s_mul_i32 s87, s27, s26
	s_mul_i32 s83, s3, s2
	s_ashr_i32 s84, s12, 31
	v_add_u32_e32 v6, v6, v2
	v_cndmask_b32_e64 v2, 0, 1, s[28:29]
	s_ashr_i32 s85, s13, 31
	v_add_u32_e32 v5, v3, v8
	s_ashr_i32 s86, s9, 31
	s_mul_i32 s88, s87, s10
	s_mul_i32 s89, s15, s14
	s_mov_b64 s[26:27], 0
	v_cmp_ne_u32_e64 s[0:1], 1, v2
	s_branch .LBB41_4
.LBB41_2:                               ;   in Loop: Header=BB41_4 Depth=1
	v_cvt_f16_f32_e32 v2, v32
.LBB41_3:                               ;   in Loop: Header=BB41_4 Depth=1
	v_lshlrev_b64 v[7:8], 1, v[0:1]
	v_add_co_u32_e32 v0, vcc, s83, v0
	v_addc_co_u32_e32 v1, vcc, 0, v1, vcc
	v_cmp_le_i64_e32 vcc, s[6:7], v[0:1]
	v_mov_b32_e32 v3, s23
	v_add_co_u32_e64 v7, s[2:3], s22, v7
	v_addc_co_u32_e64 v8, s[2:3], v3, v8, s[2:3]
	s_or_b64 s[26:27], vcc, s[26:27]
	global_store_short v[7:8], v2, off
	s_andn2_b64 exec, exec, s[26:27]
	s_cbranch_execz .LBB41_58
.LBB41_4:                               ; =>This Loop Header: Depth=1
                                        ;     Child Loop BB41_7 Depth 2
	s_and_b64 vcc, exec, s[0:1]
	s_cbranch_vccnz .LBB41_57
; %bb.5:                                ;   in Loop: Header=BB41_4 Depth=1
	v_sub_u32_e32 v2, 0, v0
	v_max_i32_e32 v2, v0, v2
	v_mul_hi_u32 v3, v2, v4
	v_ashrrev_i32_e32 v8, 31, v0
	v_xor_b32_e32 v8, s84, v8
	v_add_u32_e32 v15, s16, v0
	v_mul_lo_u32 v7, v3, s8
	v_add_u32_e32 v9, 1, v3
	v_sub_u32_e32 v2, v2, v7
	v_cmp_le_u32_e32 vcc, s8, v2
	v_subrev_u32_e32 v7, s8, v2
	v_cndmask_b32_e32 v3, v3, v9, vcc
	v_cndmask_b32_e32 v2, v2, v7, vcc
	v_add_u32_e32 v7, 1, v3
	v_cmp_le_u32_e32 vcc, s8, v2
	v_cndmask_b32_e32 v2, v3, v7, vcc
	v_xor_b32_e32 v2, v2, v8
	v_sub_u32_e32 v2, v2, v8
	v_sub_u32_e32 v3, 0, v2
	v_max_i32_e32 v3, v2, v3
	v_mul_hi_u32 v7, v3, v5
	v_ashrrev_i32_e32 v9, 31, v2
	v_xor_b32_e32 v9, s85, v9
	v_add_u32_e32 v17, s17, v2
	v_mul_lo_u32 v8, v7, s33
	v_add_u32_e32 v10, 1, v7
	v_sub_u32_e32 v3, v3, v8
	v_cmp_le_u32_e32 vcc, s33, v3
	v_subrev_u32_e32 v8, s33, v3
	v_cndmask_b32_e32 v7, v7, v10, vcc
	v_cndmask_b32_e32 v3, v3, v8, vcc
	v_add_u32_e32 v8, 1, v7
	v_cmp_le_u32_e32 vcc, s33, v3
	v_cndmask_b32_e32 v3, v7, v8, vcc
	v_xor_b32_e32 v3, v3, v9
	v_sub_u32_e32 v7, v3, v9
	v_sub_u32_e32 v3, 0, v7
	v_max_i32_e32 v3, v7, v3
	v_mul_hi_u32 v8, v3, v6
	v_mul_lo_u32 v14, v7, s13
	v_mul_lo_u32 v9, v8, s82
	v_add_u32_e32 v10, 1, v8
	v_sub_u32_e32 v19, v17, v14
	v_add_u32_e32 v14, s19, v14
	v_sub_u32_e32 v3, v3, v9
	v_cmp_le_u32_e32 vcc, s82, v3
	v_subrev_u32_e32 v9, s82, v3
	v_cndmask_b32_e32 v8, v8, v10, vcc
	v_cndmask_b32_e32 v3, v3, v9, vcc
	v_add_u32_e32 v9, 1, v8
	v_cmp_le_u32_e32 vcc, s82, v3
	v_cndmask_b32_e32 v8, v8, v9, vcc
	v_mul_lo_u32 v9, v2, s12
	v_ashrrev_i32_e32 v3, 1, v19
	v_sub_u32_e32 v22, v17, v14
	v_cmp_gt_i32_e32 vcc, s15, v3
	v_sub_u32_e32 v11, v15, v9
	v_add_u32_e32 v9, s18, v9
	v_ashrrev_i32_e32 v2, 1, v11
	v_sub_u32_e32 v12, v15, v9
	v_add_u32_e32 v9, s18, v9
	v_cmp_lt_i32_e64 s[2:3], -1, v2
	v_cmp_gt_i32_e64 s[4:5], s14, v2
	v_ashrrev_i32_e32 v30, 1, v12
	v_sub_u32_e32 v13, v15, v9
	v_add_u32_e32 v9, s18, v9
	s_and_b64 s[38:39], s[2:3], s[4:5]
	v_cmp_lt_i32_e64 s[2:3], -1, v30
	v_cmp_gt_i32_e64 s[4:5], s14, v30
	v_ashrrev_i32_e32 v29, 1, v13
	v_sub_u32_e32 v10, v15, v9
	v_add_u32_e32 v9, s18, v9
	s_and_b64 s[70:71], s[2:3], s[4:5]
	v_cmp_lt_i32_e64 s[2:3], -1, v29
	v_cmp_gt_i32_e64 s[4:5], s14, v29
	v_sub_u32_e32 v9, v15, v9
	v_ashrrev_i32_e32 v28, 1, v10
	s_and_b64 s[72:73], s[2:3], s[4:5]
	v_cmp_lt_i32_e64 s[2:3], -1, v28
	v_cmp_gt_i32_e64 s[4:5], s14, v28
	v_ashrrev_i32_e32 v27, 1, v9
	s_and_b64 s[74:75], s[2:3], s[4:5]
	v_cmp_lt_i32_e64 s[2:3], -1, v27
	v_cmp_gt_i32_e64 s[4:5], s14, v27
	v_add_u32_e32 v15, s19, v14
	s_and_b64 s[2:3], s[2:3], s[4:5]
	v_ashrrev_i32_e32 v16, 1, v22
	v_sub_u32_e32 v21, v17, v15
	v_add_u32_e32 v18, s19, v15
	s_and_b64 s[28:29], vcc, s[38:39]
	s_and_b64 s[30:31], vcc, s[70:71]
	;; [unrolled: 1-line block ×5, first 2 shown]
	v_cmp_gt_i32_e32 vcc, s15, v16
	v_ashrrev_i32_e32 v14, 1, v21
	v_sub_u32_e32 v20, v17, v18
	v_add_u32_e32 v18, s19, v18
	s_and_b64 s[80:81], vcc, s[38:39]
	s_and_b64 s[78:79], vcc, s[70:71]
	;; [unrolled: 1-line block ×5, first 2 shown]
	v_cmp_gt_i32_e32 vcc, s15, v14
	v_ashrrev_i32_e32 v15, 1, v20
	v_sub_u32_e32 v17, v17, v18
	s_and_b64 s[48:49], vcc, s[38:39]
	s_and_b64 s[50:51], vcc, s[70:71]
	;; [unrolled: 1-line block ×5, first 2 shown]
	v_cmp_gt_i32_e32 vcc, s15, v15
	v_ashrrev_i32_e32 v18, 1, v17
	v_or_b32_e32 v23, v19, v11
	s_and_b64 s[58:59], vcc, s[38:39]
	s_and_b64 s[60:61], vcc, s[70:71]
	;; [unrolled: 1-line block ×5, first 2 shown]
	v_cmp_gt_i32_e32 vcc, s15, v18
	v_and_b32_e32 v23, 1, v23
	s_and_b64 s[68:69], vcc, s[38:39]
	s_and_b64 s[70:71], vcc, s[70:71]
	;; [unrolled: 1-line block ×5, first 2 shown]
	v_cmp_gt_i32_e32 vcc, 0, v3
	v_cmp_eq_u32_e64 s[2:3], 1, v23
	v_or_b32_e32 v23, v19, v12
	s_or_b64 s[2:3], s[2:3], vcc
	s_xor_b64 s[4:5], s[28:29], -1
	v_and_b32_e32 v23, 1, v23
	s_nor_b64 s[4:5], s[2:3], s[4:5]
	v_cmp_eq_u32_e64 s[2:3], 1, v23
	v_or_b32_e32 v23, v19, v13
	s_or_b64 s[2:3], s[2:3], vcc
	s_xor_b64 s[28:29], s[30:31], -1
	v_and_b32_e32 v23, 1, v23
	s_nor_b64 s[28:29], s[2:3], s[28:29]
	v_cmp_eq_u32_e64 s[2:3], 1, v23
	v_or_b32_e32 v23, v19, v10
	s_or_b64 s[2:3], s[2:3], vcc
	s_xor_b64 s[30:31], s[34:35], -1
	v_and_b32_e32 v23, 1, v23
	s_nor_b64 s[30:31], s[2:3], s[30:31]
	v_cmp_eq_u32_e64 s[2:3], 1, v23
	v_or_b32_e32 v19, v19, v9
	s_or_b64 s[2:3], s[2:3], vcc
	s_xor_b64 s[34:35], s[36:37], -1
	v_and_b32_e32 v19, 1, v19
	s_nor_b64 s[34:35], s[2:3], s[34:35]
	v_cmp_eq_u32_e64 s[2:3], 1, v19
	v_or_b32_e32 v19, v22, v11
	s_or_b64 s[2:3], s[2:3], vcc
	s_xor_b64 s[36:37], s[40:41], -1
	v_and_b32_e32 v19, 1, v19
	s_nor_b64 s[36:37], s[2:3], s[36:37]
	v_cmp_gt_i32_e32 vcc, 0, v16
	v_cmp_eq_u32_e64 s[2:3], 1, v19
	v_or_b32_e32 v19, v22, v12
	s_or_b64 s[2:3], s[2:3], vcc
	s_xor_b64 s[38:39], s[80:81], -1
	v_and_b32_e32 v19, 1, v19
	s_nor_b64 s[38:39], s[2:3], s[38:39]
	v_cmp_eq_u32_e64 s[2:3], 1, v19
	v_or_b32_e32 v19, v22, v13
	s_or_b64 s[2:3], s[2:3], vcc
	s_xor_b64 s[40:41], s[78:79], -1
	v_and_b32_e32 v19, 1, v19
	s_nor_b64 s[40:41], s[2:3], s[40:41]
	v_cmp_eq_u32_e64 s[2:3], 1, v19
	v_or_b32_e32 v19, v22, v10
	s_or_b64 s[2:3], s[2:3], vcc
	s_xor_b64 s[42:43], s[42:43], -1
	v_and_b32_e32 v19, 1, v19
	s_nor_b64 s[42:43], s[2:3], s[42:43]
	v_cmp_eq_u32_e64 s[2:3], 1, v19
	v_or_b32_e32 v19, v22, v9
	s_or_b64 s[2:3], s[2:3], vcc
	s_xor_b64 s[44:45], s[44:45], -1
	v_and_b32_e32 v19, 1, v19
	s_nor_b64 s[44:45], s[2:3], s[44:45]
	v_cmp_eq_u32_e64 s[2:3], 1, v19
	v_or_b32_e32 v19, v21, v11
	s_or_b64 s[2:3], s[2:3], vcc
	s_xor_b64 s[46:47], s[46:47], -1
	v_and_b32_e32 v19, 1, v19
	s_nor_b64 s[46:47], s[2:3], s[46:47]
	;; [unrolled: 31-line block ×4, first 2 shown]
	v_cmp_gt_i32_e32 vcc, 0, v18
	v_cmp_eq_u32_e64 s[2:3], 1, v11
	v_or_b32_e32 v11, v17, v12
	s_or_b64 s[2:3], s[2:3], vcc
	s_xor_b64 s[68:69], s[68:69], -1
	v_and_b32_e32 v11, 1, v11
	s_nor_b64 s[68:69], s[2:3], s[68:69]
	v_cmp_eq_u32_e64 s[2:3], 1, v11
	v_or_b32_e32 v11, v17, v13
	s_or_b64 s[2:3], s[2:3], vcc
	s_xor_b64 s[70:71], s[70:71], -1
	v_and_b32_e32 v11, 1, v11
	s_nor_b64 s[70:71], s[2:3], s[70:71]
	v_cmp_eq_u32_e64 s[2:3], 1, v11
	v_ashrrev_i32_e32 v11, 31, v7
	v_xor_b32_e32 v11, s86, v11
	v_xor_b32_e32 v8, v8, v11
	v_sub_u32_e32 v8, v8, v11
	v_mul_lo_u32 v11, v8, s9
	v_mul_lo_u32 v8, v8, s11
	s_or_b64 s[2:3], s[2:3], vcc
	s_xor_b64 s[72:73], s[72:73], -1
	v_sub_u32_e32 v32, v7, v11
	s_nor_b64 s[72:73], s[2:3], s[72:73]
	v_mad_u64_u32 v[7:8], s[2:3], v32, s10, v[8:9]
	v_or_b32_e32 v10, v17, v10
	v_and_b32_e32 v8, 1, v10
	v_mul_lo_u32 v22, s15, v7
	v_cmp_eq_u32_e64 s[2:3], 1, v8
	v_or_b32_e32 v7, v17, v9
	s_or_b64 s[2:3], s[2:3], vcc
	v_add_u32_e32 v8, v18, v22
	v_mul_lo_u32 v23, s14, v8
	v_add_u32_e32 v8, v15, v22
	v_add_u32_e32 v12, v14, v22
	;; [unrolled: 1-line block ×4, first 2 shown]
	v_mul_lo_u32 v24, s14, v8
	v_mul_lo_u32 v25, s14, v12
	;; [unrolled: 1-line block ×4, first 2 shown]
	s_xor_b64 s[74:75], s[74:75], -1
	v_and_b32_e32 v7, 1, v7
	s_nor_b64 s[74:75], s[2:3], s[74:75]
	v_cmp_eq_u32_e64 s[2:3], 1, v7
	v_add_u32_e32 v7, v27, v23
	v_add_u32_e32 v8, v28, v23
	;; [unrolled: 1-line block ×21, first 2 shown]
	v_mul_lo_u32 v2, s88, v32
	s_or_b64 s[2:3], s[2:3], vcc
	s_xor_b64 s[76:77], s[76:77], -1
	v_add_u32_e32 v27, v27, v3
	v_add_u32_e32 v28, v28, v3
	;; [unrolled: 1-line block ×4, first 2 shown]
	s_nor_b64 s[2:3], s[2:3], s[76:77]
	s_mov_b32 s78, 0
	s_mov_b32 s79, s10
	v_mov_b32_e32 v32, 0
	s_branch .LBB41_7
.LBB41_6:                               ;   in Loop: Header=BB41_7 Depth=2
	s_or_b64 exec, exec, s[76:77]
	s_add_i32 s79, s79, -1
	s_add_i32 s78, s78, s89
	s_cmp_eq_u32 s79, 0
	v_add_u32_e32 v2, s87, v2
	s_cbranch_scc1 .LBB41_2
.LBB41_7:                               ;   Parent Loop BB41_4 Depth=1
                                        ; =>  This Inner Loop Header: Depth=2
	v_ashrrev_i32_e32 v3, 31, v2
	s_and_saveexec_b64 s[76:77], s[4:5]
	s_cbranch_execnz .LBB41_32
; %bb.8:                                ;   in Loop: Header=BB41_7 Depth=2
	s_or_b64 exec, exec, s[76:77]
	s_and_saveexec_b64 s[76:77], s[28:29]
	s_cbranch_execnz .LBB41_33
.LBB41_9:                               ;   in Loop: Header=BB41_7 Depth=2
	s_or_b64 exec, exec, s[76:77]
	s_and_saveexec_b64 s[76:77], s[30:31]
	s_cbranch_execnz .LBB41_34
.LBB41_10:                              ;   in Loop: Header=BB41_7 Depth=2
	s_or_b64 exec, exec, s[76:77]
	s_and_saveexec_b64 s[76:77], s[34:35]
	s_cbranch_execnz .LBB41_35
.LBB41_11:                              ;   in Loop: Header=BB41_7 Depth=2
	s_or_b64 exec, exec, s[76:77]
	s_and_saveexec_b64 s[76:77], s[36:37]
	s_cbranch_execnz .LBB41_36
.LBB41_12:                              ;   in Loop: Header=BB41_7 Depth=2
	s_or_b64 exec, exec, s[76:77]
	s_and_saveexec_b64 s[76:77], s[38:39]
	s_cbranch_execnz .LBB41_37
.LBB41_13:                              ;   in Loop: Header=BB41_7 Depth=2
	s_or_b64 exec, exec, s[76:77]
	s_and_saveexec_b64 s[76:77], s[40:41]
	s_cbranch_execnz .LBB41_38
.LBB41_14:                              ;   in Loop: Header=BB41_7 Depth=2
	s_or_b64 exec, exec, s[76:77]
	s_and_saveexec_b64 s[76:77], s[42:43]
	s_cbranch_execnz .LBB41_39
.LBB41_15:                              ;   in Loop: Header=BB41_7 Depth=2
	s_or_b64 exec, exec, s[76:77]
	s_and_saveexec_b64 s[76:77], s[44:45]
	s_cbranch_execnz .LBB41_40
.LBB41_16:                              ;   in Loop: Header=BB41_7 Depth=2
	s_or_b64 exec, exec, s[76:77]
	s_and_saveexec_b64 s[76:77], s[46:47]
	s_cbranch_execnz .LBB41_41
.LBB41_17:                              ;   in Loop: Header=BB41_7 Depth=2
	s_or_b64 exec, exec, s[76:77]
	s_and_saveexec_b64 s[76:77], s[48:49]
	s_cbranch_execnz .LBB41_42
.LBB41_18:                              ;   in Loop: Header=BB41_7 Depth=2
	s_or_b64 exec, exec, s[76:77]
	s_and_saveexec_b64 s[76:77], s[50:51]
	s_cbranch_execnz .LBB41_43
.LBB41_19:                              ;   in Loop: Header=BB41_7 Depth=2
	s_or_b64 exec, exec, s[76:77]
	s_and_saveexec_b64 s[76:77], s[52:53]
	s_cbranch_execnz .LBB41_44
.LBB41_20:                              ;   in Loop: Header=BB41_7 Depth=2
	s_or_b64 exec, exec, s[76:77]
	s_and_saveexec_b64 s[76:77], s[54:55]
	s_cbranch_execnz .LBB41_45
.LBB41_21:                              ;   in Loop: Header=BB41_7 Depth=2
	s_or_b64 exec, exec, s[76:77]
	s_and_saveexec_b64 s[76:77], s[56:57]
	s_cbranch_execnz .LBB41_46
.LBB41_22:                              ;   in Loop: Header=BB41_7 Depth=2
	s_or_b64 exec, exec, s[76:77]
	s_and_saveexec_b64 s[76:77], s[58:59]
	s_cbranch_execnz .LBB41_47
.LBB41_23:                              ;   in Loop: Header=BB41_7 Depth=2
	s_or_b64 exec, exec, s[76:77]
	s_and_saveexec_b64 s[76:77], s[60:61]
	s_cbranch_execnz .LBB41_48
.LBB41_24:                              ;   in Loop: Header=BB41_7 Depth=2
	s_or_b64 exec, exec, s[76:77]
	s_and_saveexec_b64 s[76:77], s[62:63]
	s_cbranch_execnz .LBB41_49
.LBB41_25:                              ;   in Loop: Header=BB41_7 Depth=2
	s_or_b64 exec, exec, s[76:77]
	s_and_saveexec_b64 s[76:77], s[64:65]
	s_cbranch_execnz .LBB41_50
.LBB41_26:                              ;   in Loop: Header=BB41_7 Depth=2
	s_or_b64 exec, exec, s[76:77]
	s_and_saveexec_b64 s[76:77], s[66:67]
	s_cbranch_execnz .LBB41_51
.LBB41_27:                              ;   in Loop: Header=BB41_7 Depth=2
	s_or_b64 exec, exec, s[76:77]
	s_and_saveexec_b64 s[76:77], s[68:69]
	s_cbranch_execnz .LBB41_52
.LBB41_28:                              ;   in Loop: Header=BB41_7 Depth=2
	s_or_b64 exec, exec, s[76:77]
	s_and_saveexec_b64 s[76:77], s[70:71]
	s_cbranch_execnz .LBB41_53
.LBB41_29:                              ;   in Loop: Header=BB41_7 Depth=2
	s_or_b64 exec, exec, s[76:77]
	s_and_saveexec_b64 s[76:77], s[72:73]
	s_cbranch_execnz .LBB41_54
.LBB41_30:                              ;   in Loop: Header=BB41_7 Depth=2
	s_or_b64 exec, exec, s[76:77]
	s_and_saveexec_b64 s[76:77], s[74:75]
	s_cbranch_execnz .LBB41_55
.LBB41_31:                              ;   in Loop: Header=BB41_7 Depth=2
	s_or_b64 exec, exec, s[76:77]
	s_and_saveexec_b64 s[76:77], s[2:3]
	s_cbranch_execz .LBB41_6
	s_branch .LBB41_56
.LBB41_32:                              ;   in Loop: Header=BB41_7 Depth=2
	v_lshlrev_b64 v[34:35], 1, v[2:3]
	v_mov_b32_e32 v36, s25
	v_add_co_u32_e32 v34, vcc, s24, v34
	v_add_u32_e32 v33, s78, v31
	v_addc_co_u32_e32 v35, vcc, v36, v35, vcc
	global_load_ushort v35, v[34:35], off
	v_ashrrev_i32_e32 v34, 31, v33
	v_lshlrev_b64 v[33:34], 1, v[33:34]
	v_mov_b32_e32 v36, s21
	v_add_co_u32_e32 v33, vcc, s20, v33
	v_addc_co_u32_e32 v34, vcc, v36, v34, vcc
	global_load_ushort v33, v[33:34], off
	s_waitcnt vmcnt(0)
	v_fma_mix_f32 v32, v35, v33, v32 op_sel_hi:[1,1,0]
	s_or_b64 exec, exec, s[76:77]
	s_and_saveexec_b64 s[76:77], s[28:29]
	s_cbranch_execz .LBB41_9
.LBB41_33:                              ;   in Loop: Header=BB41_7 Depth=2
	v_lshlrev_b64 v[34:35], 1, v[2:3]
	v_mov_b32_e32 v36, s25
	v_add_co_u32_e32 v34, vcc, s24, v34
	v_add_u32_e32 v33, s78, v30
	v_addc_co_u32_e32 v35, vcc, v36, v35, vcc
	global_load_ushort v35, v[34:35], off offset:2
	v_ashrrev_i32_e32 v34, 31, v33
	v_lshlrev_b64 v[33:34], 1, v[33:34]
	v_mov_b32_e32 v36, s21
	v_add_co_u32_e32 v33, vcc, s20, v33
	v_addc_co_u32_e32 v34, vcc, v36, v34, vcc
	global_load_ushort v33, v[33:34], off
	s_waitcnt vmcnt(0)
	v_fma_mix_f32 v32, v35, v33, v32 op_sel_hi:[1,1,0]
	s_or_b64 exec, exec, s[76:77]
	s_and_saveexec_b64 s[76:77], s[30:31]
	s_cbranch_execz .LBB41_10
.LBB41_34:                              ;   in Loop: Header=BB41_7 Depth=2
	v_lshlrev_b64 v[34:35], 1, v[2:3]
	v_mov_b32_e32 v36, s25
	v_add_co_u32_e32 v34, vcc, s24, v34
	v_add_u32_e32 v33, s78, v29
	v_addc_co_u32_e32 v35, vcc, v36, v35, vcc
	global_load_ushort v35, v[34:35], off offset:4
	v_ashrrev_i32_e32 v34, 31, v33
	v_lshlrev_b64 v[33:34], 1, v[33:34]
	v_mov_b32_e32 v36, s21
	v_add_co_u32_e32 v33, vcc, s20, v33
	v_addc_co_u32_e32 v34, vcc, v36, v34, vcc
	global_load_ushort v33, v[33:34], off
	s_waitcnt vmcnt(0)
	v_fma_mix_f32 v32, v35, v33, v32 op_sel_hi:[1,1,0]
	s_or_b64 exec, exec, s[76:77]
	s_and_saveexec_b64 s[76:77], s[34:35]
	s_cbranch_execz .LBB41_11
.LBB41_35:                              ;   in Loop: Header=BB41_7 Depth=2
	v_lshlrev_b64 v[34:35], 1, v[2:3]
	v_mov_b32_e32 v36, s25
	v_add_co_u32_e32 v34, vcc, s24, v34
	v_add_u32_e32 v33, s78, v28
	v_addc_co_u32_e32 v35, vcc, v36, v35, vcc
	global_load_ushort v35, v[34:35], off offset:6
	v_ashrrev_i32_e32 v34, 31, v33
	v_lshlrev_b64 v[33:34], 1, v[33:34]
	v_mov_b32_e32 v36, s21
	v_add_co_u32_e32 v33, vcc, s20, v33
	v_addc_co_u32_e32 v34, vcc, v36, v34, vcc
	global_load_ushort v33, v[33:34], off
	s_waitcnt vmcnt(0)
	v_fma_mix_f32 v32, v35, v33, v32 op_sel_hi:[1,1,0]
	s_or_b64 exec, exec, s[76:77]
	s_and_saveexec_b64 s[76:77], s[36:37]
	s_cbranch_execz .LBB41_12
.LBB41_36:                              ;   in Loop: Header=BB41_7 Depth=2
	v_lshlrev_b64 v[34:35], 1, v[2:3]
	v_mov_b32_e32 v36, s25
	v_add_co_u32_e32 v34, vcc, s24, v34
	v_add_u32_e32 v33, s78, v27
	v_addc_co_u32_e32 v35, vcc, v36, v35, vcc
	global_load_ushort v35, v[34:35], off offset:8
	v_ashrrev_i32_e32 v34, 31, v33
	v_lshlrev_b64 v[33:34], 1, v[33:34]
	v_mov_b32_e32 v36, s21
	v_add_co_u32_e32 v33, vcc, s20, v33
	v_addc_co_u32_e32 v34, vcc, v36, v34, vcc
	global_load_ushort v33, v[33:34], off
	s_waitcnt vmcnt(0)
	v_fma_mix_f32 v32, v35, v33, v32 op_sel_hi:[1,1,0]
	s_or_b64 exec, exec, s[76:77]
	s_and_saveexec_b64 s[76:77], s[38:39]
	s_cbranch_execz .LBB41_13
.LBB41_37:                              ;   in Loop: Header=BB41_7 Depth=2
	v_lshlrev_b64 v[34:35], 1, v[2:3]
	v_mov_b32_e32 v36, s25
	v_add_co_u32_e32 v34, vcc, s24, v34
	v_add_u32_e32 v33, s78, v26
	v_addc_co_u32_e32 v35, vcc, v36, v35, vcc
	global_load_ushort v35, v[34:35], off offset:10
	v_ashrrev_i32_e32 v34, 31, v33
	v_lshlrev_b64 v[33:34], 1, v[33:34]
	v_mov_b32_e32 v36, s21
	v_add_co_u32_e32 v33, vcc, s20, v33
	v_addc_co_u32_e32 v34, vcc, v36, v34, vcc
	global_load_ushort v33, v[33:34], off
	s_waitcnt vmcnt(0)
	v_fma_mix_f32 v32, v35, v33, v32 op_sel_hi:[1,1,0]
	s_or_b64 exec, exec, s[76:77]
	s_and_saveexec_b64 s[76:77], s[40:41]
	s_cbranch_execz .LBB41_14
.LBB41_38:                              ;   in Loop: Header=BB41_7 Depth=2
	v_lshlrev_b64 v[34:35], 1, v[2:3]
	v_mov_b32_e32 v36, s25
	v_add_co_u32_e32 v34, vcc, s24, v34
	v_add_u32_e32 v33, s78, v25
	v_addc_co_u32_e32 v35, vcc, v36, v35, vcc
	global_load_ushort v35, v[34:35], off offset:12
	v_ashrrev_i32_e32 v34, 31, v33
	v_lshlrev_b64 v[33:34], 1, v[33:34]
	v_mov_b32_e32 v36, s21
	v_add_co_u32_e32 v33, vcc, s20, v33
	v_addc_co_u32_e32 v34, vcc, v36, v34, vcc
	global_load_ushort v33, v[33:34], off
	s_waitcnt vmcnt(0)
	v_fma_mix_f32 v32, v35, v33, v32 op_sel_hi:[1,1,0]
	s_or_b64 exec, exec, s[76:77]
	s_and_saveexec_b64 s[76:77], s[42:43]
	s_cbranch_execz .LBB41_15
.LBB41_39:                              ;   in Loop: Header=BB41_7 Depth=2
	v_lshlrev_b64 v[34:35], 1, v[2:3]
	v_mov_b32_e32 v36, s25
	v_add_co_u32_e32 v34, vcc, s24, v34
	v_add_u32_e32 v33, s78, v21
	v_addc_co_u32_e32 v35, vcc, v36, v35, vcc
	global_load_ushort v35, v[34:35], off offset:14
	v_ashrrev_i32_e32 v34, 31, v33
	v_lshlrev_b64 v[33:34], 1, v[33:34]
	v_mov_b32_e32 v36, s21
	v_add_co_u32_e32 v33, vcc, s20, v33
	v_addc_co_u32_e32 v34, vcc, v36, v34, vcc
	global_load_ushort v33, v[33:34], off
	s_waitcnt vmcnt(0)
	v_fma_mix_f32 v32, v35, v33, v32 op_sel_hi:[1,1,0]
	s_or_b64 exec, exec, s[76:77]
	s_and_saveexec_b64 s[76:77], s[44:45]
	s_cbranch_execz .LBB41_16
.LBB41_40:                              ;   in Loop: Header=BB41_7 Depth=2
	v_lshlrev_b64 v[34:35], 1, v[2:3]
	v_mov_b32_e32 v36, s25
	v_add_co_u32_e32 v34, vcc, s24, v34
	v_add_u32_e32 v33, s78, v20
	v_addc_co_u32_e32 v35, vcc, v36, v35, vcc
	global_load_ushort v35, v[34:35], off offset:16
	v_ashrrev_i32_e32 v34, 31, v33
	v_lshlrev_b64 v[33:34], 1, v[33:34]
	v_mov_b32_e32 v36, s21
	v_add_co_u32_e32 v33, vcc, s20, v33
	v_addc_co_u32_e32 v34, vcc, v36, v34, vcc
	global_load_ushort v33, v[33:34], off
	s_waitcnt vmcnt(0)
	v_fma_mix_f32 v32, v35, v33, v32 op_sel_hi:[1,1,0]
	s_or_b64 exec, exec, s[76:77]
	s_and_saveexec_b64 s[76:77], s[46:47]
	s_cbranch_execz .LBB41_17
.LBB41_41:                              ;   in Loop: Header=BB41_7 Depth=2
	v_lshlrev_b64 v[34:35], 1, v[2:3]
	v_mov_b32_e32 v36, s25
	v_add_co_u32_e32 v34, vcc, s24, v34
	v_add_u32_e32 v33, s78, v19
	v_addc_co_u32_e32 v35, vcc, v36, v35, vcc
	global_load_ushort v35, v[34:35], off offset:18
	v_ashrrev_i32_e32 v34, 31, v33
	v_lshlrev_b64 v[33:34], 1, v[33:34]
	v_mov_b32_e32 v36, s21
	v_add_co_u32_e32 v33, vcc, s20, v33
	v_addc_co_u32_e32 v34, vcc, v36, v34, vcc
	global_load_ushort v33, v[33:34], off
	s_waitcnt vmcnt(0)
	v_fma_mix_f32 v32, v35, v33, v32 op_sel_hi:[1,1,0]
	s_or_b64 exec, exec, s[76:77]
	s_and_saveexec_b64 s[76:77], s[48:49]
	s_cbranch_execz .LBB41_18
.LBB41_42:                              ;   in Loop: Header=BB41_7 Depth=2
	v_lshlrev_b64 v[34:35], 1, v[2:3]
	v_mov_b32_e32 v36, s25
	v_add_co_u32_e32 v34, vcc, s24, v34
	v_add_u32_e32 v33, s78, v24
	v_addc_co_u32_e32 v35, vcc, v36, v35, vcc
	global_load_ushort v35, v[34:35], off offset:20
	v_ashrrev_i32_e32 v34, 31, v33
	v_lshlrev_b64 v[33:34], 1, v[33:34]
	v_mov_b32_e32 v36, s21
	v_add_co_u32_e32 v33, vcc, s20, v33
	v_addc_co_u32_e32 v34, vcc, v36, v34, vcc
	global_load_ushort v33, v[33:34], off
	s_waitcnt vmcnt(0)
	v_fma_mix_f32 v32, v35, v33, v32 op_sel_hi:[1,1,0]
	s_or_b64 exec, exec, s[76:77]
	s_and_saveexec_b64 s[76:77], s[50:51]
	s_cbranch_execz .LBB41_19
.LBB41_43:                              ;   in Loop: Header=BB41_7 Depth=2
	v_lshlrev_b64 v[34:35], 1, v[2:3]
	v_mov_b32_e32 v36, s25
	v_add_co_u32_e32 v34, vcc, s24, v34
	v_add_u32_e32 v33, s78, v18
	v_addc_co_u32_e32 v35, vcc, v36, v35, vcc
	global_load_ushort v35, v[34:35], off offset:22
	v_ashrrev_i32_e32 v34, 31, v33
	v_lshlrev_b64 v[33:34], 1, v[33:34]
	v_mov_b32_e32 v36, s21
	v_add_co_u32_e32 v33, vcc, s20, v33
	v_addc_co_u32_e32 v34, vcc, v36, v34, vcc
	global_load_ushort v33, v[33:34], off
	s_waitcnt vmcnt(0)
	v_fma_mix_f32 v32, v35, v33, v32 op_sel_hi:[1,1,0]
	s_or_b64 exec, exec, s[76:77]
	s_and_saveexec_b64 s[76:77], s[52:53]
	s_cbranch_execz .LBB41_20
.LBB41_44:                              ;   in Loop: Header=BB41_7 Depth=2
	v_lshlrev_b64 v[34:35], 1, v[2:3]
	v_mov_b32_e32 v36, s25
	v_add_co_u32_e32 v34, vcc, s24, v34
	v_add_u32_e32 v33, s78, v17
	v_addc_co_u32_e32 v35, vcc, v36, v35, vcc
	global_load_ushort v35, v[34:35], off offset:24
	v_ashrrev_i32_e32 v34, 31, v33
	v_lshlrev_b64 v[33:34], 1, v[33:34]
	v_mov_b32_e32 v36, s21
	v_add_co_u32_e32 v33, vcc, s20, v33
	v_addc_co_u32_e32 v34, vcc, v36, v34, vcc
	global_load_ushort v33, v[33:34], off
	s_waitcnt vmcnt(0)
	v_fma_mix_f32 v32, v35, v33, v32 op_sel_hi:[1,1,0]
	s_or_b64 exec, exec, s[76:77]
	s_and_saveexec_b64 s[76:77], s[54:55]
	s_cbranch_execz .LBB41_21
.LBB41_45:                              ;   in Loop: Header=BB41_7 Depth=2
	v_lshlrev_b64 v[34:35], 1, v[2:3]
	v_mov_b32_e32 v36, s25
	v_add_co_u32_e32 v34, vcc, s24, v34
	v_add_u32_e32 v33, s78, v16
	v_addc_co_u32_e32 v35, vcc, v36, v35, vcc
	global_load_ushort v35, v[34:35], off offset:26
	v_ashrrev_i32_e32 v34, 31, v33
	v_lshlrev_b64 v[33:34], 1, v[33:34]
	v_mov_b32_e32 v36, s21
	v_add_co_u32_e32 v33, vcc, s20, v33
	v_addc_co_u32_e32 v34, vcc, v36, v34, vcc
	global_load_ushort v33, v[33:34], off
	s_waitcnt vmcnt(0)
	v_fma_mix_f32 v32, v35, v33, v32 op_sel_hi:[1,1,0]
	s_or_b64 exec, exec, s[76:77]
	s_and_saveexec_b64 s[76:77], s[56:57]
	s_cbranch_execz .LBB41_22
.LBB41_46:                              ;   in Loop: Header=BB41_7 Depth=2
	v_lshlrev_b64 v[34:35], 1, v[2:3]
	v_mov_b32_e32 v36, s25
	v_add_co_u32_e32 v34, vcc, s24, v34
	v_add_u32_e32 v33, s78, v15
	v_addc_co_u32_e32 v35, vcc, v36, v35, vcc
	global_load_ushort v35, v[34:35], off offset:28
	v_ashrrev_i32_e32 v34, 31, v33
	v_lshlrev_b64 v[33:34], 1, v[33:34]
	v_mov_b32_e32 v36, s21
	v_add_co_u32_e32 v33, vcc, s20, v33
	v_addc_co_u32_e32 v34, vcc, v36, v34, vcc
	global_load_ushort v33, v[33:34], off
	s_waitcnt vmcnt(0)
	v_fma_mix_f32 v32, v35, v33, v32 op_sel_hi:[1,1,0]
	s_or_b64 exec, exec, s[76:77]
	s_and_saveexec_b64 s[76:77], s[58:59]
	s_cbranch_execz .LBB41_23
.LBB41_47:                              ;   in Loop: Header=BB41_7 Depth=2
	v_lshlrev_b64 v[34:35], 1, v[2:3]
	v_mov_b32_e32 v36, s25
	v_add_co_u32_e32 v34, vcc, s24, v34
	v_add_u32_e32 v33, s78, v23
	v_addc_co_u32_e32 v35, vcc, v36, v35, vcc
	global_load_ushort v35, v[34:35], off offset:30
	v_ashrrev_i32_e32 v34, 31, v33
	v_lshlrev_b64 v[33:34], 1, v[33:34]
	v_mov_b32_e32 v36, s21
	v_add_co_u32_e32 v33, vcc, s20, v33
	v_addc_co_u32_e32 v34, vcc, v36, v34, vcc
	global_load_ushort v33, v[33:34], off
	s_waitcnt vmcnt(0)
	v_fma_mix_f32 v32, v35, v33, v32 op_sel_hi:[1,1,0]
	s_or_b64 exec, exec, s[76:77]
	s_and_saveexec_b64 s[76:77], s[60:61]
	s_cbranch_execz .LBB41_24
.LBB41_48:                              ;   in Loop: Header=BB41_7 Depth=2
	v_lshlrev_b64 v[34:35], 1, v[2:3]
	v_mov_b32_e32 v36, s25
	v_add_co_u32_e32 v34, vcc, s24, v34
	v_add_u32_e32 v33, s78, v14
	v_addc_co_u32_e32 v35, vcc, v36, v35, vcc
	global_load_ushort v35, v[34:35], off offset:32
	v_ashrrev_i32_e32 v34, 31, v33
	v_lshlrev_b64 v[33:34], 1, v[33:34]
	v_mov_b32_e32 v36, s21
	v_add_co_u32_e32 v33, vcc, s20, v33
	v_addc_co_u32_e32 v34, vcc, v36, v34, vcc
	global_load_ushort v33, v[33:34], off
	s_waitcnt vmcnt(0)
	v_fma_mix_f32 v32, v35, v33, v32 op_sel_hi:[1,1,0]
	s_or_b64 exec, exec, s[76:77]
	s_and_saveexec_b64 s[76:77], s[62:63]
	s_cbranch_execz .LBB41_25
.LBB41_49:                              ;   in Loop: Header=BB41_7 Depth=2
	v_lshlrev_b64 v[34:35], 1, v[2:3]
	v_mov_b32_e32 v36, s25
	v_add_co_u32_e32 v34, vcc, s24, v34
	v_add_u32_e32 v33, s78, v13
	v_addc_co_u32_e32 v35, vcc, v36, v35, vcc
	global_load_ushort v35, v[34:35], off offset:34
	v_ashrrev_i32_e32 v34, 31, v33
	v_lshlrev_b64 v[33:34], 1, v[33:34]
	v_mov_b32_e32 v36, s21
	v_add_co_u32_e32 v33, vcc, s20, v33
	v_addc_co_u32_e32 v34, vcc, v36, v34, vcc
	global_load_ushort v33, v[33:34], off
	s_waitcnt vmcnt(0)
	v_fma_mix_f32 v32, v35, v33, v32 op_sel_hi:[1,1,0]
	s_or_b64 exec, exec, s[76:77]
	s_and_saveexec_b64 s[76:77], s[64:65]
	s_cbranch_execz .LBB41_26
.LBB41_50:                              ;   in Loop: Header=BB41_7 Depth=2
	v_lshlrev_b64 v[34:35], 1, v[2:3]
	v_mov_b32_e32 v36, s25
	v_add_co_u32_e32 v34, vcc, s24, v34
	v_add_u32_e32 v33, s78, v12
	v_addc_co_u32_e32 v35, vcc, v36, v35, vcc
	global_load_ushort v35, v[34:35], off offset:36
	v_ashrrev_i32_e32 v34, 31, v33
	v_lshlrev_b64 v[33:34], 1, v[33:34]
	v_mov_b32_e32 v36, s21
	v_add_co_u32_e32 v33, vcc, s20, v33
	v_addc_co_u32_e32 v34, vcc, v36, v34, vcc
	global_load_ushort v33, v[33:34], off
	s_waitcnt vmcnt(0)
	v_fma_mix_f32 v32, v35, v33, v32 op_sel_hi:[1,1,0]
	s_or_b64 exec, exec, s[76:77]
	s_and_saveexec_b64 s[76:77], s[66:67]
	s_cbranch_execz .LBB41_27
.LBB41_51:                              ;   in Loop: Header=BB41_7 Depth=2
	v_lshlrev_b64 v[34:35], 1, v[2:3]
	v_mov_b32_e32 v36, s25
	v_add_co_u32_e32 v34, vcc, s24, v34
	v_add_u32_e32 v33, s78, v11
	v_addc_co_u32_e32 v35, vcc, v36, v35, vcc
	global_load_ushort v35, v[34:35], off offset:38
	v_ashrrev_i32_e32 v34, 31, v33
	v_lshlrev_b64 v[33:34], 1, v[33:34]
	v_mov_b32_e32 v36, s21
	v_add_co_u32_e32 v33, vcc, s20, v33
	v_addc_co_u32_e32 v34, vcc, v36, v34, vcc
	global_load_ushort v33, v[33:34], off
	s_waitcnt vmcnt(0)
	v_fma_mix_f32 v32, v35, v33, v32 op_sel_hi:[1,1,0]
	s_or_b64 exec, exec, s[76:77]
	s_and_saveexec_b64 s[76:77], s[68:69]
	s_cbranch_execz .LBB41_28
.LBB41_52:                              ;   in Loop: Header=BB41_7 Depth=2
	v_lshlrev_b64 v[34:35], 1, v[2:3]
	v_mov_b32_e32 v36, s25
	v_add_co_u32_e32 v34, vcc, s24, v34
	v_add_u32_e32 v33, s78, v22
	v_addc_co_u32_e32 v35, vcc, v36, v35, vcc
	global_load_ushort v35, v[34:35], off offset:40
	v_ashrrev_i32_e32 v34, 31, v33
	v_lshlrev_b64 v[33:34], 1, v[33:34]
	v_mov_b32_e32 v36, s21
	v_add_co_u32_e32 v33, vcc, s20, v33
	v_addc_co_u32_e32 v34, vcc, v36, v34, vcc
	global_load_ushort v33, v[33:34], off
	s_waitcnt vmcnt(0)
	v_fma_mix_f32 v32, v35, v33, v32 op_sel_hi:[1,1,0]
	s_or_b64 exec, exec, s[76:77]
	s_and_saveexec_b64 s[76:77], s[70:71]
	s_cbranch_execz .LBB41_29
.LBB41_53:                              ;   in Loop: Header=BB41_7 Depth=2
	v_lshlrev_b64 v[34:35], 1, v[2:3]
	v_mov_b32_e32 v36, s25
	v_add_co_u32_e32 v34, vcc, s24, v34
	v_add_u32_e32 v33, s78, v10
	v_addc_co_u32_e32 v35, vcc, v36, v35, vcc
	global_load_ushort v35, v[34:35], off offset:42
	v_ashrrev_i32_e32 v34, 31, v33
	v_lshlrev_b64 v[33:34], 1, v[33:34]
	v_mov_b32_e32 v36, s21
	v_add_co_u32_e32 v33, vcc, s20, v33
	v_addc_co_u32_e32 v34, vcc, v36, v34, vcc
	global_load_ushort v33, v[33:34], off
	s_waitcnt vmcnt(0)
	v_fma_mix_f32 v32, v35, v33, v32 op_sel_hi:[1,1,0]
	s_or_b64 exec, exec, s[76:77]
	s_and_saveexec_b64 s[76:77], s[72:73]
	s_cbranch_execz .LBB41_30
.LBB41_54:                              ;   in Loop: Header=BB41_7 Depth=2
	v_lshlrev_b64 v[34:35], 1, v[2:3]
	v_mov_b32_e32 v36, s25
	v_add_co_u32_e32 v34, vcc, s24, v34
	v_add_u32_e32 v33, s78, v9
	v_addc_co_u32_e32 v35, vcc, v36, v35, vcc
	global_load_ushort v35, v[34:35], off offset:44
	v_ashrrev_i32_e32 v34, 31, v33
	v_lshlrev_b64 v[33:34], 1, v[33:34]
	v_mov_b32_e32 v36, s21
	v_add_co_u32_e32 v33, vcc, s20, v33
	v_addc_co_u32_e32 v34, vcc, v36, v34, vcc
	global_load_ushort v33, v[33:34], off
	s_waitcnt vmcnt(0)
	v_fma_mix_f32 v32, v35, v33, v32 op_sel_hi:[1,1,0]
	s_or_b64 exec, exec, s[76:77]
	s_and_saveexec_b64 s[76:77], s[74:75]
	s_cbranch_execz .LBB41_31
.LBB41_55:                              ;   in Loop: Header=BB41_7 Depth=2
	v_lshlrev_b64 v[34:35], 1, v[2:3]
	v_mov_b32_e32 v36, s25
	v_add_co_u32_e32 v34, vcc, s24, v34
	v_add_u32_e32 v33, s78, v8
	v_addc_co_u32_e32 v35, vcc, v36, v35, vcc
	global_load_ushort v35, v[34:35], off offset:46
	v_ashrrev_i32_e32 v34, 31, v33
	v_lshlrev_b64 v[33:34], 1, v[33:34]
	v_mov_b32_e32 v36, s21
	v_add_co_u32_e32 v33, vcc, s20, v33
	v_addc_co_u32_e32 v34, vcc, v36, v34, vcc
	global_load_ushort v33, v[33:34], off
	s_waitcnt vmcnt(0)
	v_fma_mix_f32 v32, v35, v33, v32 op_sel_hi:[1,1,0]
	s_or_b64 exec, exec, s[76:77]
	s_and_saveexec_b64 s[76:77], s[2:3]
	s_cbranch_execz .LBB41_6
.LBB41_56:                              ;   in Loop: Header=BB41_7 Depth=2
	v_lshlrev_b64 v[34:35], 1, v[2:3]
	v_mov_b32_e32 v3, s25
	v_add_co_u32_e32 v34, vcc, s24, v34
	v_add_u32_e32 v33, s78, v7
	v_addc_co_u32_e32 v35, vcc, v3, v35, vcc
	global_load_ushort v3, v[34:35], off offset:48
	v_ashrrev_i32_e32 v34, 31, v33
	v_lshlrev_b64 v[33:34], 1, v[33:34]
	v_mov_b32_e32 v35, s21
	v_add_co_u32_e32 v33, vcc, s20, v33
	v_addc_co_u32_e32 v34, vcc, v35, v34, vcc
	global_load_ushort v33, v[33:34], off
	s_waitcnt vmcnt(0)
	v_fma_mix_f32 v32, v3, v33, v32 op_sel_hi:[1,1,0]
	s_branch .LBB41_6
.LBB41_57:                              ;   in Loop: Header=BB41_4 Depth=1
	v_mov_b32_e32 v2, 0
	s_branch .LBB41_3
.LBB41_58:
	s_endpgm
	.section	.rodata,"a",@progbits
	.p2align	6, 0x0
	.amdhsa_kernel _ZN2at6native12_GLOBAL__N_132conv_depthwise2d_backward_kernelILi5ELi2EN3c104HalfEiEEvN5torch10headeronly6detail27GenericPackedTensorAccessorINS7_14TensorAccessorINS3_8ArrayRefIlEEKT1_Lm3ENS6_16DefaultPtrTraitsEiEENS_6detail16IndexBoundsCheckILm4EiEESD_Lm4ESE_iEENS8_INS9_ISB_SC_Lm3ESE_iEESI_SC_Lm4ESE_iEESJ_T2_iiiiiiiiiiiiiii
		.amdhsa_group_segment_fixed_size 0
		.amdhsa_private_segment_fixed_size 0
		.amdhsa_kernarg_size 440
		.amdhsa_user_sgpr_count 6
		.amdhsa_user_sgpr_private_segment_buffer 1
		.amdhsa_user_sgpr_dispatch_ptr 0
		.amdhsa_user_sgpr_queue_ptr 0
		.amdhsa_user_sgpr_kernarg_segment_ptr 1
		.amdhsa_user_sgpr_dispatch_id 0
		.amdhsa_user_sgpr_flat_scratch_init 0
		.amdhsa_user_sgpr_private_segment_size 0
		.amdhsa_uses_dynamic_stack 0
		.amdhsa_system_sgpr_private_segment_wavefront_offset 0
		.amdhsa_system_sgpr_workgroup_id_x 1
		.amdhsa_system_sgpr_workgroup_id_y 0
		.amdhsa_system_sgpr_workgroup_id_z 0
		.amdhsa_system_sgpr_workgroup_info 0
		.amdhsa_system_vgpr_workitem_id 0
		.amdhsa_next_free_vgpr 37
		.amdhsa_next_free_sgpr 90
		.amdhsa_reserve_vcc 1
		.amdhsa_reserve_flat_scratch 0
		.amdhsa_float_round_mode_32 0
		.amdhsa_float_round_mode_16_64 0
		.amdhsa_float_denorm_mode_32 3
		.amdhsa_float_denorm_mode_16_64 3
		.amdhsa_dx10_clamp 1
		.amdhsa_ieee_mode 1
		.amdhsa_fp16_overflow 0
		.amdhsa_exception_fp_ieee_invalid_op 0
		.amdhsa_exception_fp_denorm_src 0
		.amdhsa_exception_fp_ieee_div_zero 0
		.amdhsa_exception_fp_ieee_overflow 0
		.amdhsa_exception_fp_ieee_underflow 0
		.amdhsa_exception_fp_ieee_inexact 0
		.amdhsa_exception_int_div_zero 0
	.end_amdhsa_kernel
	.section	.text._ZN2at6native12_GLOBAL__N_132conv_depthwise2d_backward_kernelILi5ELi2EN3c104HalfEiEEvN5torch10headeronly6detail27GenericPackedTensorAccessorINS7_14TensorAccessorINS3_8ArrayRefIlEEKT1_Lm3ENS6_16DefaultPtrTraitsEiEENS_6detail16IndexBoundsCheckILm4EiEESD_Lm4ESE_iEENS8_INS9_ISB_SC_Lm3ESE_iEESI_SC_Lm4ESE_iEESJ_T2_iiiiiiiiiiiiiii,"axG",@progbits,_ZN2at6native12_GLOBAL__N_132conv_depthwise2d_backward_kernelILi5ELi2EN3c104HalfEiEEvN5torch10headeronly6detail27GenericPackedTensorAccessorINS7_14TensorAccessorINS3_8ArrayRefIlEEKT1_Lm3ENS6_16DefaultPtrTraitsEiEENS_6detail16IndexBoundsCheckILm4EiEESD_Lm4ESE_iEENS8_INS9_ISB_SC_Lm3ESE_iEESI_SC_Lm4ESE_iEESJ_T2_iiiiiiiiiiiiiii,comdat
.Lfunc_end41:
	.size	_ZN2at6native12_GLOBAL__N_132conv_depthwise2d_backward_kernelILi5ELi2EN3c104HalfEiEEvN5torch10headeronly6detail27GenericPackedTensorAccessorINS7_14TensorAccessorINS3_8ArrayRefIlEEKT1_Lm3ENS6_16DefaultPtrTraitsEiEENS_6detail16IndexBoundsCheckILm4EiEESD_Lm4ESE_iEENS8_INS9_ISB_SC_Lm3ESE_iEESI_SC_Lm4ESE_iEESJ_T2_iiiiiiiiiiiiiii, .Lfunc_end41-_ZN2at6native12_GLOBAL__N_132conv_depthwise2d_backward_kernelILi5ELi2EN3c104HalfEiEEvN5torch10headeronly6detail27GenericPackedTensorAccessorINS7_14TensorAccessorINS3_8ArrayRefIlEEKT1_Lm3ENS6_16DefaultPtrTraitsEiEENS_6detail16IndexBoundsCheckILm4EiEESD_Lm4ESE_iEENS8_INS9_ISB_SC_Lm3ESE_iEESI_SC_Lm4ESE_iEESJ_T2_iiiiiiiiiiiiiii
                                        ; -- End function
	.set _ZN2at6native12_GLOBAL__N_132conv_depthwise2d_backward_kernelILi5ELi2EN3c104HalfEiEEvN5torch10headeronly6detail27GenericPackedTensorAccessorINS7_14TensorAccessorINS3_8ArrayRefIlEEKT1_Lm3ENS6_16DefaultPtrTraitsEiEENS_6detail16IndexBoundsCheckILm4EiEESD_Lm4ESE_iEENS8_INS9_ISB_SC_Lm3ESE_iEESI_SC_Lm4ESE_iEESJ_T2_iiiiiiiiiiiiiii.num_vgpr, 37
	.set _ZN2at6native12_GLOBAL__N_132conv_depthwise2d_backward_kernelILi5ELi2EN3c104HalfEiEEvN5torch10headeronly6detail27GenericPackedTensorAccessorINS7_14TensorAccessorINS3_8ArrayRefIlEEKT1_Lm3ENS6_16DefaultPtrTraitsEiEENS_6detail16IndexBoundsCheckILm4EiEESD_Lm4ESE_iEENS8_INS9_ISB_SC_Lm3ESE_iEESI_SC_Lm4ESE_iEESJ_T2_iiiiiiiiiiiiiii.num_agpr, 0
	.set _ZN2at6native12_GLOBAL__N_132conv_depthwise2d_backward_kernelILi5ELi2EN3c104HalfEiEEvN5torch10headeronly6detail27GenericPackedTensorAccessorINS7_14TensorAccessorINS3_8ArrayRefIlEEKT1_Lm3ENS6_16DefaultPtrTraitsEiEENS_6detail16IndexBoundsCheckILm4EiEESD_Lm4ESE_iEENS8_INS9_ISB_SC_Lm3ESE_iEESI_SC_Lm4ESE_iEESJ_T2_iiiiiiiiiiiiiii.numbered_sgpr, 90
	.set _ZN2at6native12_GLOBAL__N_132conv_depthwise2d_backward_kernelILi5ELi2EN3c104HalfEiEEvN5torch10headeronly6detail27GenericPackedTensorAccessorINS7_14TensorAccessorINS3_8ArrayRefIlEEKT1_Lm3ENS6_16DefaultPtrTraitsEiEENS_6detail16IndexBoundsCheckILm4EiEESD_Lm4ESE_iEENS8_INS9_ISB_SC_Lm3ESE_iEESI_SC_Lm4ESE_iEESJ_T2_iiiiiiiiiiiiiii.num_named_barrier, 0
	.set _ZN2at6native12_GLOBAL__N_132conv_depthwise2d_backward_kernelILi5ELi2EN3c104HalfEiEEvN5torch10headeronly6detail27GenericPackedTensorAccessorINS7_14TensorAccessorINS3_8ArrayRefIlEEKT1_Lm3ENS6_16DefaultPtrTraitsEiEENS_6detail16IndexBoundsCheckILm4EiEESD_Lm4ESE_iEENS8_INS9_ISB_SC_Lm3ESE_iEESI_SC_Lm4ESE_iEESJ_T2_iiiiiiiiiiiiiii.private_seg_size, 0
	.set _ZN2at6native12_GLOBAL__N_132conv_depthwise2d_backward_kernelILi5ELi2EN3c104HalfEiEEvN5torch10headeronly6detail27GenericPackedTensorAccessorINS7_14TensorAccessorINS3_8ArrayRefIlEEKT1_Lm3ENS6_16DefaultPtrTraitsEiEENS_6detail16IndexBoundsCheckILm4EiEESD_Lm4ESE_iEENS8_INS9_ISB_SC_Lm3ESE_iEESI_SC_Lm4ESE_iEESJ_T2_iiiiiiiiiiiiiii.uses_vcc, 1
	.set _ZN2at6native12_GLOBAL__N_132conv_depthwise2d_backward_kernelILi5ELi2EN3c104HalfEiEEvN5torch10headeronly6detail27GenericPackedTensorAccessorINS7_14TensorAccessorINS3_8ArrayRefIlEEKT1_Lm3ENS6_16DefaultPtrTraitsEiEENS_6detail16IndexBoundsCheckILm4EiEESD_Lm4ESE_iEENS8_INS9_ISB_SC_Lm3ESE_iEESI_SC_Lm4ESE_iEESJ_T2_iiiiiiiiiiiiiii.uses_flat_scratch, 0
	.set _ZN2at6native12_GLOBAL__N_132conv_depthwise2d_backward_kernelILi5ELi2EN3c104HalfEiEEvN5torch10headeronly6detail27GenericPackedTensorAccessorINS7_14TensorAccessorINS3_8ArrayRefIlEEKT1_Lm3ENS6_16DefaultPtrTraitsEiEENS_6detail16IndexBoundsCheckILm4EiEESD_Lm4ESE_iEENS8_INS9_ISB_SC_Lm3ESE_iEESI_SC_Lm4ESE_iEESJ_T2_iiiiiiiiiiiiiii.has_dyn_sized_stack, 0
	.set _ZN2at6native12_GLOBAL__N_132conv_depthwise2d_backward_kernelILi5ELi2EN3c104HalfEiEEvN5torch10headeronly6detail27GenericPackedTensorAccessorINS7_14TensorAccessorINS3_8ArrayRefIlEEKT1_Lm3ENS6_16DefaultPtrTraitsEiEENS_6detail16IndexBoundsCheckILm4EiEESD_Lm4ESE_iEENS8_INS9_ISB_SC_Lm3ESE_iEESI_SC_Lm4ESE_iEESJ_T2_iiiiiiiiiiiiiii.has_recursion, 0
	.set _ZN2at6native12_GLOBAL__N_132conv_depthwise2d_backward_kernelILi5ELi2EN3c104HalfEiEEvN5torch10headeronly6detail27GenericPackedTensorAccessorINS7_14TensorAccessorINS3_8ArrayRefIlEEKT1_Lm3ENS6_16DefaultPtrTraitsEiEENS_6detail16IndexBoundsCheckILm4EiEESD_Lm4ESE_iEENS8_INS9_ISB_SC_Lm3ESE_iEESI_SC_Lm4ESE_iEESJ_T2_iiiiiiiiiiiiiii.has_indirect_call, 0
	.section	.AMDGPU.csdata,"",@progbits
; Kernel info:
; codeLenInByte = 4460
; TotalNumSgprs: 94
; NumVgprs: 37
; ScratchSize: 0
; MemoryBound: 0
; FloatMode: 240
; IeeeMode: 1
; LDSByteSize: 0 bytes/workgroup (compile time only)
; SGPRBlocks: 11
; VGPRBlocks: 9
; NumSGPRsForWavesPerEU: 94
; NumVGPRsForWavesPerEU: 37
; Occupancy: 6
; WaveLimiterHint : 0
; COMPUTE_PGM_RSRC2:SCRATCH_EN: 0
; COMPUTE_PGM_RSRC2:USER_SGPR: 6
; COMPUTE_PGM_RSRC2:TRAP_HANDLER: 0
; COMPUTE_PGM_RSRC2:TGID_X_EN: 1
; COMPUTE_PGM_RSRC2:TGID_Y_EN: 0
; COMPUTE_PGM_RSRC2:TGID_Z_EN: 0
; COMPUTE_PGM_RSRC2:TIDIG_COMP_CNT: 0
	.section	.text._ZN2at6native12_GLOBAL__N_132conv_depthwise2d_backward_kernelILi5ELi0EN3c104HalfEiEEvN5torch10headeronly6detail27GenericPackedTensorAccessorINS7_14TensorAccessorINS3_8ArrayRefIlEEKT1_Lm3ENS6_16DefaultPtrTraitsEiEENS_6detail16IndexBoundsCheckILm4EiEESD_Lm4ESE_iEENS8_INS9_ISB_SC_Lm3ESE_iEESI_SC_Lm4ESE_iEESJ_T2_iiiiiiiiiiiiiii,"axG",@progbits,_ZN2at6native12_GLOBAL__N_132conv_depthwise2d_backward_kernelILi5ELi0EN3c104HalfEiEEvN5torch10headeronly6detail27GenericPackedTensorAccessorINS7_14TensorAccessorINS3_8ArrayRefIlEEKT1_Lm3ENS6_16DefaultPtrTraitsEiEENS_6detail16IndexBoundsCheckILm4EiEESD_Lm4ESE_iEENS8_INS9_ISB_SC_Lm3ESE_iEESI_SC_Lm4ESE_iEESJ_T2_iiiiiiiiiiiiiii,comdat
	.globl	_ZN2at6native12_GLOBAL__N_132conv_depthwise2d_backward_kernelILi5ELi0EN3c104HalfEiEEvN5torch10headeronly6detail27GenericPackedTensorAccessorINS7_14TensorAccessorINS3_8ArrayRefIlEEKT1_Lm3ENS6_16DefaultPtrTraitsEiEENS_6detail16IndexBoundsCheckILm4EiEESD_Lm4ESE_iEENS8_INS9_ISB_SC_Lm3ESE_iEESI_SC_Lm4ESE_iEESJ_T2_iiiiiiiiiiiiiii ; -- Begin function _ZN2at6native12_GLOBAL__N_132conv_depthwise2d_backward_kernelILi5ELi0EN3c104HalfEiEEvN5torch10headeronly6detail27GenericPackedTensorAccessorINS7_14TensorAccessorINS3_8ArrayRefIlEEKT1_Lm3ENS6_16DefaultPtrTraitsEiEENS_6detail16IndexBoundsCheckILm4EiEESD_Lm4ESE_iEENS8_INS9_ISB_SC_Lm3ESE_iEESI_SC_Lm4ESE_iEESJ_T2_iiiiiiiiiiiiiii
	.p2align	8
	.type	_ZN2at6native12_GLOBAL__N_132conv_depthwise2d_backward_kernelILi5ELi0EN3c104HalfEiEEvN5torch10headeronly6detail27GenericPackedTensorAccessorINS7_14TensorAccessorINS3_8ArrayRefIlEEKT1_Lm3ENS6_16DefaultPtrTraitsEiEENS_6detail16IndexBoundsCheckILm4EiEESD_Lm4ESE_iEENS8_INS9_ISB_SC_Lm3ESE_iEESI_SC_Lm4ESE_iEESJ_T2_iiiiiiiiiiiiiii,@function
_ZN2at6native12_GLOBAL__N_132conv_depthwise2d_backward_kernelILi5ELi0EN3c104HalfEiEEvN5torch10headeronly6detail27GenericPackedTensorAccessorINS7_14TensorAccessorINS3_8ArrayRefIlEEKT1_Lm3ENS6_16DefaultPtrTraitsEiEENS_6detail16IndexBoundsCheckILm4EiEESD_Lm4ESE_iEENS8_INS9_ISB_SC_Lm3ESE_iEESI_SC_Lm4ESE_iEESJ_T2_iiiiiiiiiiiiiii: ; @_ZN2at6native12_GLOBAL__N_132conv_depthwise2d_backward_kernelILi5ELi0EN3c104HalfEiEEvN5torch10headeronly6detail27GenericPackedTensorAccessorINS7_14TensorAccessorINS3_8ArrayRefIlEEKT1_Lm3ENS6_16DefaultPtrTraitsEiEENS_6detail16IndexBoundsCheckILm4EiEESD_Lm4ESE_iEENS8_INS9_ISB_SC_Lm3ESE_iEESI_SC_Lm4ESE_iEESJ_T2_iiiiiiiiiiiiiii
; %bb.0:
	s_load_dword s2, s[4:5], 0xc4
	s_load_dwordx16 s[56:71], s[4:5], 0x78
	s_add_u32 s0, s4, 0xb8
	s_addc_u32 s1, s5, 0
	v_mov_b32_e32 v1, 0
	s_waitcnt lgkmcnt(0)
	s_and_b32 s2, s2, 0xffff
	v_mov_b32_e32 v2, s6
	v_mad_u64_u32 v[0:1], s[6:7], s2, v2, v[0:1]
	s_ashr_i32 s7, s56, 31
	s_mov_b32 s6, s56
                                        ; implicit-def: $vgpr44 : SGPR spill to VGPR lane
	v_writelane_b32 v44, s6, 0
	v_cmp_gt_i64_e32 vcc, s[6:7], v[0:1]
	v_writelane_b32 v44, s7, 1
	s_and_saveexec_b64 s[6:7], vcc
	s_cbranch_execz .LBB42_206
; %bb.1:
	s_cmp_gt_i32 s58, 0
	s_load_dword s3, s[0:1], 0x0
	s_cselect_b64 s[0:1], -1, 0
	s_abs_i32 s85, s60
	v_cvt_f32_u32_e32 v2, s85
	s_load_dwordx2 s[74:75], s[4:5], 0x0
	s_load_dwordx2 s[6:7], s[4:5], 0x28
	;; [unrolled: 1-line block ×3, first 2 shown]
                                        ; kill: killed $sgpr4 killed $sgpr5
	s_abs_i32 s4, s61
	v_rcp_iflag_f32_e32 v2, v2
	v_cvt_f32_u32_e32 v3, s4
	s_waitcnt lgkmcnt(0)
	v_writelane_b32 v44, s6, 2
	v_writelane_b32 v44, s7, 3
	v_mul_f32_e32 v2, 0x4f7ffffe, v2
	v_rcp_iflag_f32_e32 v3, v3
	v_cvt_u32_f32_e32 v2, v2
	s_mul_i32 s2, s3, s2
	v_writelane_b32 v44, s2, 4
	s_ashr_i32 s2, s60, 31
	s_abs_i32 s3, s57
	v_writelane_b32 v44, s2, 5
	s_sub_i32 s2, 0, s85
	v_mul_f32_e32 v3, 0x4f7ffffe, v3
	v_cvt_f32_u32_e32 v5, s3
	v_mul_lo_u32 v4, s2, v2
	v_cvt_u32_f32_e32 v3, v3
	s_sub_i32 s2, 0, s4
	v_rcp_iflag_f32_e32 v5, v5
	v_mul_hi_u32 v4, v2, v4
	v_mul_lo_u32 v6, s2, v3
	s_abs_i32 s56, s67
	v_mul_f32_e32 v5, 0x4f7ffffe, v5
	v_add_u32_e32 v4, v2, v4
	v_mul_hi_u32 v2, v3, v6
	v_cvt_u32_f32_e32 v6, v5
	v_cvt_f32_u32_e32 v5, s56
	s_abs_i32 s33, s66
	v_cvt_f32_u32_e32 v7, s33
	v_writelane_b32 v44, s4, 6
	v_rcp_iflag_f32_e32 v9, v5
	v_add_u32_e32 v5, v3, v2
	v_rcp_iflag_f32_e32 v2, v7
	s_ashr_i32 s2, s61, 31
	v_writelane_b32 v44, s2, 7
	s_sub_i32 s2, 0, s3
	v_mul_f32_e32 v7, 0x4f7ffffe, v9
	v_mul_lo_u32 v8, s2, v6
	v_cvt_u32_f32_e32 v7, v7
	v_mul_f32_e32 v2, 0x4f7ffffe, v2
	v_cvt_u32_f32_e32 v2, v2
	s_sub_i32 s2, 0, s56
	v_mul_hi_u32 v3, v6, v8
	v_mul_lo_u32 v8, s2, v7
	s_sub_i32 s2, 0, s33
	v_mul_lo_u32 v9, s2, v2
	v_add_u32_e32 v6, v6, v3
	v_mul_hi_u32 v8, v7, v8
	v_writelane_b32 v44, s3, 8
	v_mul_hi_u32 v3, v2, v9
	s_ashr_i32 s2, s57, 31
	v_writelane_b32 v44, s2, 9
	s_ashr_i32 s2, s67, 31
	v_writelane_b32 v44, s2, 10
	v_add_u32_e32 v7, v7, v8
	s_ashr_i32 s2, s66, 31
	v_add_u32_e32 v8, v2, v3
	v_cndmask_b32_e64 v2, 0, 1, s[0:1]
	v_writelane_b32 v44, s2, 11
	v_cmp_ne_u32_e64 s[0:1], 1, v2
	s_mul_i32 s82, s65, s64
	s_mov_b64 s[64:65], 0
	v_writelane_b32 v44, s0, 12
	v_writelane_b32 v44, s1, 13
	s_branch .LBB42_4
.LBB42_2:                               ;   in Loop: Header=BB42_4 Depth=1
	v_cvt_f16_f32_e32 v2, v33
.LBB42_3:                               ;   in Loop: Header=BB42_4 Depth=1
	v_readlane_b32 s0, v44, 4
	v_lshlrev_b64 v[9:10], 1, v[0:1]
	v_add_co_u32_e32 v0, vcc, s0, v0
	v_readlane_b32 s0, v44, 0
	v_readlane_b32 s2, v44, 2
	v_addc_co_u32_e32 v1, vcc, 0, v1, vcc
	v_readlane_b32 s1, v44, 1
	v_readlane_b32 s3, v44, 3
	v_cmp_le_i64_e32 vcc, s[0:1], v[0:1]
	v_mov_b32_e32 v3, s3
	v_add_co_u32_e64 v9, s[2:3], s2, v9
	v_addc_co_u32_e64 v10, s[2:3], v3, v10, s[2:3]
	s_or_b64 s[64:65], vcc, s[64:65]
	global_store_short v[9:10], v2, off
	s_andn2_b64 exec, exec, s[64:65]
	s_cbranch_execz .LBB42_206
.LBB42_4:                               ; =>This Loop Header: Depth=1
                                        ;     Child Loop BB42_9 Depth 2
	v_readlane_b32 s0, v44, 12
	v_readlane_b32 s1, v44, 13
	s_and_b64 vcc, exec, s[0:1]
	s_cbranch_vccnz .LBB42_205
; %bb.5:                                ;   in Loop: Header=BB42_4 Depth=1
	v_sub_u32_e32 v3, 0, v0
	v_max_i32_e32 v3, v0, v3
	v_mul_hi_u32 v9, v3, v4
	v_ashrrev_i32_e32 v2, 31, v0
	v_readlane_b32 s0, v44, 5
	v_xor_b32_e32 v2, s0, v2
	v_mul_lo_u32 v10, v9, s85
	v_readlane_b32 s0, v44, 7
	v_add_u32_e32 v15, s68, v0
	v_readlane_b32 s28, v44, 11
	v_sub_u32_e32 v3, v3, v10
	v_cmp_le_u32_e32 vcc, s85, v3
	v_add_u32_e32 v10, 1, v9
	v_cndmask_b32_e32 v9, v9, v10, vcc
	v_subrev_u32_e32 v10, s85, v3
	v_cndmask_b32_e32 v3, v3, v10, vcc
	v_cmp_le_u32_e32 vcc, s85, v3
	v_add_u32_e32 v3, 1, v9
	v_cndmask_b32_e32 v3, v9, v3, vcc
	v_xor_b32_e32 v3, v3, v2
	v_sub_u32_e32 v2, v3, v2
	v_sub_u32_e32 v9, 0, v2
	v_max_i32_e32 v9, v2, v9
	v_mul_hi_u32 v10, v9, v5
	v_ashrrev_i32_e32 v3, 31, v2
	v_xor_b32_e32 v3, s0, v3
	v_readlane_b32 s0, v44, 6
	v_mul_lo_u32 v11, v10, s0
	v_add_u32_e32 v16, s69, v2
	v_mul_lo_u32 v2, v2, s60
	s_mov_b32 s83, 0
	v_sub_u32_e32 v9, v9, v11
	v_cmp_le_u32_e32 vcc, s0, v9
	v_add_u32_e32 v11, 1, v10
	v_cndmask_b32_e32 v10, v10, v11, vcc
	v_subrev_u32_e32 v11, s0, v9
	v_cndmask_b32_e32 v9, v9, v11, vcc
	v_cmp_le_u32_e32 vcc, s0, v9
	v_add_u32_e32 v9, 1, v10
	v_cndmask_b32_e32 v9, v10, v9, vcc
	v_xor_b32_e32 v9, v9, v3
	v_sub_u32_e32 v3, v9, v3
	v_sub_u32_e32 v10, 0, v3
	v_max_i32_e32 v10, v3, v10
	v_mul_hi_u32 v11, v10, v6
	v_ashrrev_i32_e32 v9, 31, v3
	v_readlane_b32 s0, v44, 9
	v_xor_b32_e32 v9, s0, v9
	v_readlane_b32 s0, v44, 8
	v_mul_lo_u32 v12, v11, s0
	v_mul_lo_u32 v14, v3, s61
	s_mov_b32 s84, s58
	v_sub_u32_e32 v10, v10, v12
	v_cmp_le_u32_e32 vcc, s0, v10
	v_add_u32_e32 v12, 1, v11
	v_cndmask_b32_e32 v11, v11, v12, vcc
	v_subrev_u32_e32 v12, s0, v10
	v_cndmask_b32_e32 v10, v10, v12, vcc
	v_cmp_le_u32_e32 vcc, s0, v10
	v_add_u32_e32 v10, 1, v11
	v_cndmask_b32_e32 v10, v11, v10, vcc
	v_xor_b32_e32 v10, v10, v9
	v_sub_u32_e32 v10, v10, v9
	v_mul_lo_u32 v9, v10, s57
	v_readlane_b32 s0, v44, 10
	v_sub_u32_e32 v9, v3, v9
	v_mul_lo_u32 v3, v10, s59
	v_sub_u32_e32 v10, v16, v14
	v_ashrrev_i32_e32 v11, 31, v10
	v_xor_b32_e32 v29, s0, v11
	v_sub_u32_e32 v11, 0, v10
	v_max_i32_e32 v11, v10, v11
	v_mul_hi_u32 v12, v11, v7
	v_add_u32_e32 v14, s71, v14
	v_mul_lo_u32 v13, v12, s56
	v_sub_u32_e32 v11, v11, v13
	v_cmp_le_u32_e32 vcc, s56, v11
	v_add_u32_e32 v13, 1, v12
	v_cndmask_b32_e32 v12, v12, v13, vcc
	v_subrev_u32_e32 v13, s56, v11
	v_cndmask_b32_e32 v11, v11, v13, vcc
	v_cmp_le_u32_e32 vcc, s56, v11
	v_add_u32_e32 v11, 1, v12
	v_cndmask_b32_e32 v11, v12, v11, vcc
	v_xor_b32_e32 v30, v11, v29
	v_sub_u32_e32 v26, v30, v29
	v_mul_lo_u32 v11, v26, s67
	v_sub_u32_e32 v13, v15, v2
	v_add_u32_e32 v2, s70, v2
	v_sub_u32_e32 v12, v15, v2
	v_add_u32_e32 v2, s70, v2
	v_sub_u32_e32 v10, v10, v11
	v_sub_u32_e32 v11, v15, v2
	v_add_u32_e32 v2, s70, v2
	v_cmp_eq_u32_e32 vcc, 0, v10
	v_sub_u32_e32 v10, v15, v2
	v_add_u32_e32 v2, s70, v2
	v_sub_u32_e32 v2, v15, v2
	v_sub_u32_e32 v15, v16, v14
	v_ashrrev_i32_e32 v17, 31, v15
	v_xor_b32_e32 v24, s0, v17
	v_sub_u32_e32 v17, 0, v15
	v_max_i32_e32 v17, v15, v17
	v_mul_hi_u32 v18, v17, v7
	v_add_u32_e32 v14, s71, v14
	v_cmp_lt_i32_e64 s[12:13], -1, v26
	v_cmp_gt_i32_e64 s[22:23], s63, v26
	v_mul_lo_u32 v19, v18, s56
	v_sub_u32_e32 v38, 0, v10
	v_max_i32_e32 v38, v10, v38
	v_mul_hi_u32 v39, v38, v8
	v_sub_u32_e32 v17, v17, v19
	v_cmp_le_u32_e64 s[2:3], s56, v17
	v_add_u32_e32 v19, 1, v18
	v_cndmask_b32_e64 v18, v18, v19, s[2:3]
	v_subrev_u32_e32 v19, s56, v17
	v_cndmask_b32_e64 v17, v17, v19, s[2:3]
	v_cmp_le_u32_e64 s[2:3], s56, v17
	v_add_u32_e32 v17, 1, v18
	v_cndmask_b32_e64 v17, v18, v17, s[2:3]
	v_xor_b32_e32 v25, v17, v24
	v_sub_u32_e32 v18, v25, v24
	v_mul_lo_u32 v17, v18, s67
	v_mul_lo_u32 v40, v39, s33
	v_sub_u32_e32 v15, v15, v17
	v_cmp_eq_u32_e64 s[2:3], 0, v15
	v_sub_u32_e32 v15, v16, v14
	v_ashrrev_i32_e32 v17, 31, v15
	v_xor_b32_e32 v19, s0, v17
	v_sub_u32_e32 v17, 0, v15
	v_max_i32_e32 v17, v15, v17
	v_mul_hi_u32 v20, v17, v7
	v_sub_u32_e32 v38, v38, v40
	v_subrev_u32_e32 v40, s33, v38
	v_mul_lo_u32 v21, v20, s56
	v_sub_u32_e32 v17, v17, v21
	v_cmp_le_u32_e64 s[4:5], s56, v17
	v_add_u32_e32 v21, 1, v20
	v_cndmask_b32_e64 v20, v20, v21, s[4:5]
	v_subrev_u32_e32 v21, s56, v17
	v_cndmask_b32_e64 v17, v17, v21, s[4:5]
	v_cmp_le_u32_e64 s[4:5], s56, v17
	v_add_u32_e32 v17, 1, v20
	v_cndmask_b32_e64 v17, v20, v17, s[4:5]
	v_xor_b32_e32 v20, v17, v19
	v_sub_u32_e32 v21, v20, v19
	v_mul_lo_u32 v17, v21, s67
	v_sub_u32_e32 v15, v15, v17
	v_add_u32_e32 v17, s71, v14
	v_sub_u32_e32 v23, v16, v17
	v_cmp_eq_u32_e64 s[4:5], 0, v15
	v_sub_u32_e32 v15, 0, v23
	v_max_i32_e32 v15, v23, v15
	v_mul_hi_u32 v22, v15, v7
	v_ashrrev_i32_e32 v14, 31, v23
	v_xor_b32_e32 v14, s0, v14
	v_add_u32_e32 v17, s71, v17
	v_mul_lo_u32 v27, v22, s56
	v_sub_u32_e32 v15, v15, v27
	v_cmp_le_u32_e64 s[6:7], s56, v15
	v_add_u32_e32 v27, 1, v22
	v_cndmask_b32_e64 v22, v22, v27, s[6:7]
	v_subrev_u32_e32 v27, s56, v15
	v_cndmask_b32_e64 v15, v15, v27, s[6:7]
	v_cmp_le_u32_e64 s[6:7], s56, v15
	v_add_u32_e32 v15, 1, v22
	v_cndmask_b32_e64 v15, v22, v15, s[6:7]
	v_xor_b32_e32 v15, v15, v14
	v_sub_u32_e32 v22, v15, v14
	v_mul_lo_u32 v27, v22, s67
	v_sub_u32_e32 v23, v23, v27
	v_sub_u32_e32 v27, v16, v17
	;; [unrolled: 1-line block ×3, first 2 shown]
	v_max_i32_e32 v17, v27, v17
	v_cmp_eq_u32_e64 s[6:7], 0, v23
	v_mul_hi_u32 v23, v17, v7
	v_ashrrev_i32_e32 v16, 31, v27
	v_xor_b32_e32 v16, s0, v16
	v_mul_lo_u32 v28, v23, s56
	v_sub_u32_e32 v17, v17, v28
	v_cmp_le_u32_e64 s[8:9], s56, v17
	v_add_u32_e32 v28, 1, v23
	v_cndmask_b32_e64 v23, v23, v28, s[8:9]
	v_subrev_u32_e32 v28, s56, v17
	v_cndmask_b32_e64 v17, v17, v28, s[8:9]
	v_cmp_le_u32_e64 s[8:9], s56, v17
	v_add_u32_e32 v17, 1, v23
	v_cndmask_b32_e64 v17, v23, v17, s[8:9]
	v_xor_b32_e32 v17, v17, v16
	v_sub_u32_e32 v23, v17, v16
	v_mul_lo_u32 v28, v23, s67
	v_sub_u32_e32 v27, v27, v28
	v_sub_u32_e32 v28, 0, v13
	v_max_i32_e32 v28, v13, v28
	v_mul_hi_u32 v31, v28, v8
	v_cmp_eq_u32_e64 s[8:9], 0, v27
	v_ashrrev_i32_e32 v27, 31, v13
	v_xor_b32_e32 v33, s28, v27
	v_mul_lo_u32 v32, v31, s33
	v_add_u32_e32 v26, 1, v31
	v_sub_u32_e32 v28, v28, v32
	v_cmp_le_u32_e64 s[14:15], s33, v28
	v_subrev_u32_e32 v32, s33, v28
	v_cndmask_b32_e64 v28, v28, v32, s[14:15]
	v_subrev_u32_e32 v32, s33, v28
	v_cmp_le_u32_e64 s[16:17], s33, v28
	v_cndmask_b32_e64 v28, v28, v32, s[16:17]
	v_xor_b32_e32 v28, v28, v27
	v_sub_u32_e32 v28, v28, v27
	v_cmp_eq_u32_e64 s[10:11], 0, v28
	v_sub_u32_e32 v28, 0, v12
	v_max_i32_e32 v28, v12, v28
	v_cndmask_b32_e64 v26, v31, v26, s[14:15]
	v_mul_hi_u32 v31, v28, v8
	v_add_u32_e32 v27, 1, v26
	v_cndmask_b32_e64 v26, v26, v27, s[16:17]
	v_ashrrev_i32_e32 v27, 31, v12
	v_mul_lo_u32 v32, v31, s33
	v_xor_b32_e32 v34, v26, v33
	v_sub_u32_e32 v26, v34, v33
	v_cmp_lt_i32_e64 s[34:35], -1, v26
	v_sub_u32_e32 v28, v28, v32
	v_cmp_le_u32_e64 s[16:17], s33, v28
	v_subrev_u32_e32 v32, s33, v28
	v_cndmask_b32_e64 v28, v28, v32, s[16:17]
	v_subrev_u32_e32 v32, s33, v28
	v_cmp_le_u32_e64 s[18:19], s33, v28
	v_cndmask_b32_e64 v28, v28, v32, s[18:19]
	v_xor_b32_e32 v28, v28, v27
	v_sub_u32_e32 v28, v28, v27
	v_xor_b32_e32 v32, s28, v27
	v_add_u32_e32 v27, 1, v31
	v_cndmask_b32_e64 v27, v31, v27, s[16:17]
	v_sub_u32_e32 v31, 0, v11
	v_max_i32_e32 v31, v11, v31
	v_mul_hi_u32 v36, v31, v8
	v_cmp_gt_i32_e64 s[36:37], s62, v26
	s_and_b64 s[0:1], s[34:35], s[36:37]
	s_and_b64 s[14:15], s[22:23], s[0:1]
	v_mul_lo_u32 v37, v36, s33
	v_writelane_b32 v44, s14, 14
	v_writelane_b32 v44, s15, 15
	v_cmp_eq_u32_e64 s[14:15], 0, v28
	v_add_u32_e32 v28, 1, v27
	v_cndmask_b32_e64 v27, v27, v28, s[18:19]
	v_sub_u32_e32 v31, v31, v37
	v_xor_b32_e32 v35, v27, v32
	v_cmp_le_u32_e64 s[18:19], s33, v31
	v_subrev_u32_e32 v37, s33, v31
	v_sub_u32_e32 v27, v35, v32
	v_cndmask_b32_e64 v31, v31, v37, s[18:19]
	v_cmp_lt_i32_e64 s[38:39], -1, v27
	v_cmp_gt_i32_e64 s[40:41], s62, v27
	v_subrev_u32_e32 v37, s33, v31
	v_cmp_le_u32_e64 s[20:21], s33, v31
	s_and_b64 s[30:31], s[38:39], s[40:41]
	v_ashrrev_i32_e32 v28, 31, v11
	v_cndmask_b32_e64 v31, v31, v37, s[20:21]
	s_and_b64 s[16:17], s[22:23], s[30:31]
	v_xor_b32_e32 v31, v31, v28
	v_writelane_b32 v44, s16, 16
	v_sub_u32_e32 v31, v31, v28
	v_writelane_b32 v44, s17, 17
	v_cmp_eq_u32_e64 s[16:17], 0, v31
	v_xor_b32_e32 v31, s28, v28
	v_add_u32_e32 v28, 1, v36
	v_cndmask_b32_e64 v28, v36, v28, s[18:19]
	v_add_u32_e32 v36, 1, v28
	v_cndmask_b32_e64 v28, v28, v36, s[20:21]
	v_cmp_le_u32_e64 s[20:21], s33, v38
	v_cndmask_b32_e64 v38, v38, v40, s[20:21]
	v_subrev_u32_e32 v40, s33, v38
	v_cmp_le_u32_e64 s[24:25], s33, v38
	v_cndmask_b32_e64 v38, v38, v40, s[24:25]
	v_sub_u32_e32 v40, 0, v2
	v_xor_b32_e32 v36, v28, v31
	v_max_i32_e32 v40, v2, v40
	v_sub_u32_e32 v28, v36, v31
	v_mul_hi_u32 v42, v40, v8
	v_cmp_lt_i32_e64 s[42:43], -1, v28
	v_cmp_gt_i32_e64 s[44:45], s62, v28
	s_and_b64 s[54:55], s[42:43], s[44:45]
	v_ashrrev_i32_e32 v37, 31, v10
	s_and_b64 s[18:19], s[22:23], s[54:55]
	v_xor_b32_e32 v38, v38, v37
	v_writelane_b32 v44, s18, 18
	v_sub_u32_e32 v38, v38, v37
	v_mul_lo_u32 v43, v42, s33
	v_writelane_b32 v44, s19, 19
	v_cmp_eq_u32_e64 s[18:19], 0, v38
	v_add_u32_e32 v38, 1, v39
	v_cndmask_b32_e64 v38, v39, v38, s[20:21]
	v_add_u32_e32 v39, 1, v38
	v_xor_b32_e32 v37, s28, v37
	v_cndmask_b32_e64 v38, v38, v39, s[24:25]
	v_sub_u32_e32 v40, v40, v43
	v_xor_b32_e32 v38, v38, v37
	v_cmp_le_u32_e64 s[24:25], s33, v40
	v_subrev_u32_e32 v43, s33, v40
	v_sub_u32_e32 v41, v38, v37
	v_cndmask_b32_e64 v40, v40, v43, s[24:25]
	v_cmp_lt_i32_e64 s[46:47], -1, v41
	v_cmp_gt_i32_e64 s[48:49], s62, v41
	v_subrev_u32_e32 v43, s33, v40
	v_cmp_le_u32_e64 s[26:27], s33, v40
	s_and_b64 s[72:73], s[46:47], s[48:49]
	v_ashrrev_i32_e32 v39, 31, v2
	v_cndmask_b32_e64 v40, v40, v43, s[26:27]
	s_and_b64 s[20:21], s[22:23], s[72:73]
	v_xor_b32_e32 v40, v40, v39
	v_writelane_b32 v44, s20, 20
	v_sub_u32_e32 v40, v40, v39
	v_writelane_b32 v44, s21, 21
	v_cmp_eq_u32_e64 s[20:21], 0, v40
	v_add_u32_e32 v40, 1, v42
	v_cndmask_b32_e64 v40, v42, v40, s[24:25]
	v_add_u32_e32 v42, 1, v40
	v_xor_b32_e32 v39, s28, v39
	v_cndmask_b32_e64 v40, v40, v42, s[26:27]
	v_xor_b32_e32 v40, v40, v39
	v_sub_u32_e32 v42, v40, v39
	v_cmp_lt_i32_e64 s[50:51], -1, v42
	v_cmp_gt_i32_e64 s[52:53], s62, v42
	s_and_b64 s[76:77], s[50:51], s[52:53]
	s_and_b64 s[22:23], s[22:23], s[76:77]
	v_writelane_b32 v44, s22, 22
	v_cmp_gt_i32_e64 s[24:25], s63, v18
	v_writelane_b32 v44, s23, 23
	s_and_b64 s[26:27], s[24:25], s[0:1]
	v_writelane_b32 v44, s26, 24
	v_writelane_b32 v44, s27, 25
	s_and_b64 s[26:27], s[24:25], s[30:31]
	v_writelane_b32 v44, s26, 26
	;; [unrolled: 3-line block ×5, first 2 shown]
	v_cmp_gt_i32_e64 s[26:27], s63, v21
	v_writelane_b32 v44, s25, 33
	s_and_b64 s[28:29], s[26:27], s[0:1]
	v_writelane_b32 v44, s28, 34
	v_writelane_b32 v44, s29, 35
	s_and_b64 s[28:29], s[26:27], s[30:31]
	v_writelane_b32 v44, s28, 36
	v_cmp_lt_i32_e64 s[22:23], -1, v18
	v_writelane_b32 v44, s29, 37
	s_and_b64 s[28:29], s[26:27], s[54:55]
	v_mul_lo_u32 v18, v26, s66
	v_writelane_b32 v44, s28, 38
	v_writelane_b32 v44, s29, 39
	s_and_b64 s[28:29], s[26:27], s[72:73]
	v_writelane_b32 v44, s28, 40
	v_writelane_b32 v44, s29, 41
	v_cmp_gt_i32_e64 s[28:29], s63, v22
	v_sub_u32_e32 v13, v13, v18
	s_and_b64 s[88:89], s[28:29], s[0:1]
	s_and_b64 s[90:91], s[28:29], s[30:31]
	;; [unrolled: 1-line block ×5, first 2 shown]
	v_cmp_eq_u32_e64 s[28:29], 0, v13
	v_mul_lo_u32 v13, v27, s66
	v_cmp_gt_i32_e64 s[54:55], s63, v23
	s_and_b64 s[36:37], s[36:37], s[54:55]
	s_and_b64 s[72:73], s[36:37], s[34:35]
	v_sub_u32_e32 v12, v12, v13
	v_cmp_eq_u32_e64 s[34:35], 0, v12
	v_mul_lo_u32 v12, v28, s66
	s_and_b64 s[36:37], s[40:41], s[54:55]
	s_and_b64 s[86:87], s[26:27], s[76:77]
	;; [unrolled: 1-line block ×3, first 2 shown]
	v_sub_u32_e32 v11, v11, v12
	v_cmp_eq_u32_e64 s[36:37], 0, v11
	v_mul_lo_u32 v11, v41, s66
	s_and_b64 s[38:39], s[44:45], s[54:55]
	s_and_b64 s[42:43], s[38:39], s[42:43]
	;; [unrolled: 1-line block ×3, first 2 shown]
	v_sub_u32_e32 v10, v10, v11
	v_cmp_eq_u32_e64 s[38:39], 0, v10
	v_mul_lo_u32 v10, v42, s66
	v_cmp_lt_i32_e64 s[30:31], -1, v23
	s_and_b64 s[44:45], s[40:41], s[46:47]
	v_cmp_lt_i32_e64 s[24:25], -1, v21
	v_sub_u32_e32 v2, v2, v10
	v_cmp_eq_u32_e64 s[40:41], 0, v2
	s_and_b64 s[46:47], s[40:41], s[30:31]
	s_and_b64 s[40:41], s[52:53], s[54:55]
	;; [unrolled: 1-line block ×3, first 2 shown]
	s_mul_i32 s40, s82, s58
	v_mul_lo_u32 v2, s40, v9
	v_mad_u64_u32 v[9:10], s[40:41], v9, s58, v[3:4]
	v_cmp_lt_i32_e64 s[26:27], -1, v22
	v_mul_lo_u32 v3, s63, v9
	v_add_u32_e32 v9, v17, v3
	v_add_u32_e32 v15, v15, v3
	;; [unrolled: 1-line block ×5, first 2 shown]
	v_sub_u32_e32 v9, v9, v16
	v_sub_u32_e32 v14, v15, v14
	;; [unrolled: 1-line block ×5, first 2 shown]
	v_mul_lo_u32 v13, s62, v9
	v_mul_lo_u32 v18, s62, v14
	;; [unrolled: 1-line block ×5, first 2 shown]
	v_add_u32_e32 v9, v40, v13
	v_add_u32_e32 v10, v38, v13
	;; [unrolled: 1-line block ×25, first 2 shown]
	v_sub_u32_e32 v9, v9, v39
	v_sub_u32_e32 v10, v10, v37
	v_sub_u32_e32 v11, v11, v31
	v_sub_u32_e32 v12, v12, v32
	v_sub_u32_e32 v13, v13, v33
	v_sub_u32_e32 v14, v14, v39
	v_sub_u32_e32 v15, v15, v37
	v_sub_u32_e32 v16, v16, v31
	v_sub_u32_e32 v17, v17, v32
	v_sub_u32_e32 v18, v18, v33
	v_sub_u32_e32 v19, v19, v39
	v_sub_u32_e32 v20, v20, v37
	v_sub_u32_e32 v21, v21, v31
	v_sub_u32_e32 v22, v22, v32
	v_sub_u32_e32 v23, v23, v33
	v_sub_u32_e32 v24, v24, v39
	v_sub_u32_e32 v25, v25, v37
	v_sub_u32_e32 v26, v26, v31
	v_sub_u32_e32 v27, v27, v32
	v_sub_u32_e32 v28, v28, v33
	v_sub_u32_e32 v29, v29, v39
	v_sub_u32_e32 v30, v30, v37
	v_sub_u32_e32 v31, v36, v31
	v_sub_u32_e32 v32, v35, v32
	v_sub_u32_e32 v34, v3, v33
	v_mov_b32_e32 v33, 0
	s_branch .LBB42_9
.LBB42_6:                               ;   in Loop: Header=BB42_9 Depth=2
	s_or_b64 exec, exec, s[54:55]
.LBB42_7:                               ;   in Loop: Header=BB42_9 Depth=2
	s_or_b64 exec, exec, s[52:53]
.LBB42_8:                               ;   in Loop: Header=BB42_9 Depth=2
	s_or_b64 exec, exec, s[50:51]
	s_mul_i32 s40, s63, s62
	s_add_i32 s84, s84, -1
	s_add_i32 s83, s83, s40
	s_cmp_eq_u32 s84, 0
	v_add_u32_e32 v2, s82, v2
	s_cbranch_scc1 .LBB42_2
.LBB42_9:                               ;   Parent Loop BB42_4 Depth=1
                                        ; =>  This Inner Loop Header: Depth=2
	s_and_saveexec_b64 s[50:51], vcc
	s_cbranch_execnz .LBB42_34
; %bb.10:                               ;   in Loop: Header=BB42_9 Depth=2
	s_or_b64 exec, exec, s[50:51]
	s_and_saveexec_b64 s[50:51], vcc
	s_cbranch_execnz .LBB42_41
.LBB42_11:                              ;   in Loop: Header=BB42_9 Depth=2
	s_or_b64 exec, exec, s[50:51]
	s_and_saveexec_b64 s[50:51], vcc
	s_cbranch_execnz .LBB42_48
.LBB42_12:                              ;   in Loop: Header=BB42_9 Depth=2
	s_or_b64 exec, exec, s[50:51]
	s_and_saveexec_b64 s[50:51], vcc
	s_cbranch_execnz .LBB42_55
.LBB42_13:                              ;   in Loop: Header=BB42_9 Depth=2
	s_or_b64 exec, exec, s[50:51]
	s_and_saveexec_b64 s[50:51], vcc
	s_cbranch_execnz .LBB42_62
.LBB42_14:                              ;   in Loop: Header=BB42_9 Depth=2
	s_or_b64 exec, exec, s[50:51]
	s_and_saveexec_b64 s[50:51], s[2:3]
	s_cbranch_execnz .LBB42_69
.LBB42_15:                              ;   in Loop: Header=BB42_9 Depth=2
	s_or_b64 exec, exec, s[50:51]
	s_and_saveexec_b64 s[50:51], s[2:3]
	s_cbranch_execnz .LBB42_76
.LBB42_16:                              ;   in Loop: Header=BB42_9 Depth=2
	s_or_b64 exec, exec, s[50:51]
	s_and_saveexec_b64 s[50:51], s[2:3]
	s_cbranch_execnz .LBB42_83
.LBB42_17:                              ;   in Loop: Header=BB42_9 Depth=2
	s_or_b64 exec, exec, s[50:51]
	s_and_saveexec_b64 s[50:51], s[2:3]
	s_cbranch_execnz .LBB42_90
.LBB42_18:                              ;   in Loop: Header=BB42_9 Depth=2
	s_or_b64 exec, exec, s[50:51]
	s_and_saveexec_b64 s[50:51], s[2:3]
	s_cbranch_execnz .LBB42_97
.LBB42_19:                              ;   in Loop: Header=BB42_9 Depth=2
	s_or_b64 exec, exec, s[50:51]
	s_and_saveexec_b64 s[50:51], s[4:5]
	s_cbranch_execnz .LBB42_104
.LBB42_20:                              ;   in Loop: Header=BB42_9 Depth=2
	s_or_b64 exec, exec, s[50:51]
	s_and_saveexec_b64 s[50:51], s[4:5]
	s_cbranch_execnz .LBB42_111
.LBB42_21:                              ;   in Loop: Header=BB42_9 Depth=2
	s_or_b64 exec, exec, s[50:51]
	s_and_saveexec_b64 s[50:51], s[4:5]
	s_cbranch_execnz .LBB42_118
.LBB42_22:                              ;   in Loop: Header=BB42_9 Depth=2
	s_or_b64 exec, exec, s[50:51]
	s_and_saveexec_b64 s[50:51], s[4:5]
	s_cbranch_execnz .LBB42_125
.LBB42_23:                              ;   in Loop: Header=BB42_9 Depth=2
	s_or_b64 exec, exec, s[50:51]
	s_and_saveexec_b64 s[50:51], s[4:5]
	s_cbranch_execnz .LBB42_132
.LBB42_24:                              ;   in Loop: Header=BB42_9 Depth=2
	s_or_b64 exec, exec, s[50:51]
	s_and_saveexec_b64 s[50:51], s[6:7]
	s_cbranch_execnz .LBB42_139
.LBB42_25:                              ;   in Loop: Header=BB42_9 Depth=2
	s_or_b64 exec, exec, s[50:51]
	s_and_saveexec_b64 s[50:51], s[6:7]
	s_cbranch_execnz .LBB42_146
.LBB42_26:                              ;   in Loop: Header=BB42_9 Depth=2
	s_or_b64 exec, exec, s[50:51]
	s_and_saveexec_b64 s[50:51], s[6:7]
	s_cbranch_execnz .LBB42_153
.LBB42_27:                              ;   in Loop: Header=BB42_9 Depth=2
	s_or_b64 exec, exec, s[50:51]
	s_and_saveexec_b64 s[50:51], s[6:7]
	s_cbranch_execnz .LBB42_160
.LBB42_28:                              ;   in Loop: Header=BB42_9 Depth=2
	s_or_b64 exec, exec, s[50:51]
	s_and_saveexec_b64 s[50:51], s[6:7]
	s_cbranch_execnz .LBB42_167
.LBB42_29:                              ;   in Loop: Header=BB42_9 Depth=2
	s_or_b64 exec, exec, s[50:51]
	s_and_saveexec_b64 s[50:51], s[8:9]
	s_cbranch_execnz .LBB42_174
.LBB42_30:                              ;   in Loop: Header=BB42_9 Depth=2
	s_or_b64 exec, exec, s[50:51]
	s_and_saveexec_b64 s[50:51], s[8:9]
	s_cbranch_execnz .LBB42_181
.LBB42_31:                              ;   in Loop: Header=BB42_9 Depth=2
	s_or_b64 exec, exec, s[50:51]
	s_and_saveexec_b64 s[50:51], s[8:9]
	s_cbranch_execnz .LBB42_188
.LBB42_32:                              ;   in Loop: Header=BB42_9 Depth=2
	s_or_b64 exec, exec, s[50:51]
	s_and_saveexec_b64 s[50:51], s[8:9]
	s_cbranch_execnz .LBB42_195
.LBB42_33:                              ;   in Loop: Header=BB42_9 Depth=2
	s_or_b64 exec, exec, s[50:51]
	s_and_saveexec_b64 s[50:51], s[8:9]
	s_cbranch_execz .LBB42_8
	s_branch .LBB42_202
.LBB42_34:                              ;   in Loop: Header=BB42_9 Depth=2
	s_and_saveexec_b64 s[52:53], s[10:11]
	s_cbranch_execz .LBB42_40
; %bb.35:                               ;   in Loop: Header=BB42_9 Depth=2
	s_and_saveexec_b64 s[54:55], s[12:13]
	s_cbranch_execz .LBB42_39
; %bb.36:                               ;   in Loop: Header=BB42_9 Depth=2
	s_mov_b64 s[80:81], exec
	v_readlane_b32 s40, v44, 14
	v_readlane_b32 s41, v44, 15
	s_and_b64 s[40:41], s[80:81], s[40:41]
	s_mov_b64 exec, s[40:41]
	s_cbranch_execz .LBB42_38
; %bb.37:                               ;   in Loop: Header=BB42_9 Depth=2
	v_ashrrev_i32_e32 v3, 31, v2
	v_lshlrev_b64 v[36:37], 1, v[2:3]
	v_mov_b32_e32 v3, s79
	v_add_co_u32_e64 v36, s[40:41], s78, v36
	v_add_u32_e32 v35, s83, v34
	v_addc_co_u32_e64 v37, s[40:41], v3, v37, s[40:41]
	global_load_ushort v3, v[36:37], off
	v_ashrrev_i32_e32 v36, 31, v35
	v_lshlrev_b64 v[35:36], 1, v[35:36]
	v_mov_b32_e32 v37, s75
	v_add_co_u32_e64 v35, s[40:41], s74, v35
	v_addc_co_u32_e64 v36, s[40:41], v37, v36, s[40:41]
	global_load_ushort v35, v[35:36], off
	s_waitcnt vmcnt(0)
	v_fma_mix_f32 v33, v3, v35, v33 op_sel_hi:[1,1,0]
.LBB42_38:                              ;   in Loop: Header=BB42_9 Depth=2
	s_or_b64 exec, exec, s[80:81]
.LBB42_39:                              ;   in Loop: Header=BB42_9 Depth=2
	s_or_b64 exec, exec, s[54:55]
.LBB42_40:                              ;   in Loop: Header=BB42_9 Depth=2
	s_or_b64 exec, exec, s[52:53]
	s_or_b64 exec, exec, s[50:51]
	s_and_saveexec_b64 s[50:51], vcc
	s_cbranch_execz .LBB42_11
.LBB42_41:                              ;   in Loop: Header=BB42_9 Depth=2
	s_and_saveexec_b64 s[52:53], s[14:15]
	s_cbranch_execz .LBB42_47
; %bb.42:                               ;   in Loop: Header=BB42_9 Depth=2
	s_and_saveexec_b64 s[54:55], s[12:13]
	s_cbranch_execz .LBB42_46
; %bb.43:                               ;   in Loop: Header=BB42_9 Depth=2
	s_mov_b64 s[80:81], exec
	v_readlane_b32 s40, v44, 16
	v_readlane_b32 s41, v44, 17
	s_and_b64 s[40:41], s[80:81], s[40:41]
	s_mov_b64 exec, s[40:41]
	s_cbranch_execz .LBB42_45
; %bb.44:                               ;   in Loop: Header=BB42_9 Depth=2
	v_ashrrev_i32_e32 v3, 31, v2
	v_lshlrev_b64 v[36:37], 1, v[2:3]
	v_mov_b32_e32 v3, s79
	v_add_co_u32_e64 v36, s[40:41], s78, v36
	v_add_u32_e32 v35, s83, v32
	v_addc_co_u32_e64 v37, s[40:41], v3, v37, s[40:41]
	global_load_ushort v3, v[36:37], off offset:2
	v_ashrrev_i32_e32 v36, 31, v35
	v_lshlrev_b64 v[35:36], 1, v[35:36]
	v_mov_b32_e32 v37, s75
	v_add_co_u32_e64 v35, s[40:41], s74, v35
	v_addc_co_u32_e64 v36, s[40:41], v37, v36, s[40:41]
	global_load_ushort v35, v[35:36], off
	s_waitcnt vmcnt(0)
	v_fma_mix_f32 v33, v3, v35, v33 op_sel_hi:[1,1,0]
.LBB42_45:                              ;   in Loop: Header=BB42_9 Depth=2
	s_or_b64 exec, exec, s[80:81]
.LBB42_46:                              ;   in Loop: Header=BB42_9 Depth=2
	s_or_b64 exec, exec, s[54:55]
.LBB42_47:                              ;   in Loop: Header=BB42_9 Depth=2
	s_or_b64 exec, exec, s[52:53]
	s_or_b64 exec, exec, s[50:51]
	s_and_saveexec_b64 s[50:51], vcc
	s_cbranch_execz .LBB42_12
.LBB42_48:                              ;   in Loop: Header=BB42_9 Depth=2
	s_and_saveexec_b64 s[52:53], s[16:17]
	s_cbranch_execz .LBB42_54
; %bb.49:                               ;   in Loop: Header=BB42_9 Depth=2
	s_and_saveexec_b64 s[54:55], s[12:13]
	s_cbranch_execz .LBB42_53
; %bb.50:                               ;   in Loop: Header=BB42_9 Depth=2
	s_mov_b64 s[80:81], exec
	v_readlane_b32 s40, v44, 18
	v_readlane_b32 s41, v44, 19
	s_and_b64 s[40:41], s[80:81], s[40:41]
	s_mov_b64 exec, s[40:41]
	s_cbranch_execz .LBB42_52
; %bb.51:                               ;   in Loop: Header=BB42_9 Depth=2
	v_ashrrev_i32_e32 v3, 31, v2
	v_lshlrev_b64 v[36:37], 1, v[2:3]
	v_mov_b32_e32 v3, s79
	v_add_co_u32_e64 v36, s[40:41], s78, v36
	v_add_u32_e32 v35, s83, v31
	v_addc_co_u32_e64 v37, s[40:41], v3, v37, s[40:41]
	global_load_ushort v3, v[36:37], off offset:4
	v_ashrrev_i32_e32 v36, 31, v35
	v_lshlrev_b64 v[35:36], 1, v[35:36]
	v_mov_b32_e32 v37, s75
	v_add_co_u32_e64 v35, s[40:41], s74, v35
	v_addc_co_u32_e64 v36, s[40:41], v37, v36, s[40:41]
	global_load_ushort v35, v[35:36], off
	s_waitcnt vmcnt(0)
	v_fma_mix_f32 v33, v3, v35, v33 op_sel_hi:[1,1,0]
.LBB42_52:                              ;   in Loop: Header=BB42_9 Depth=2
	s_or_b64 exec, exec, s[80:81]
.LBB42_53:                              ;   in Loop: Header=BB42_9 Depth=2
	s_or_b64 exec, exec, s[54:55]
.LBB42_54:                              ;   in Loop: Header=BB42_9 Depth=2
	s_or_b64 exec, exec, s[52:53]
	s_or_b64 exec, exec, s[50:51]
	s_and_saveexec_b64 s[50:51], vcc
	s_cbranch_execz .LBB42_13
.LBB42_55:                              ;   in Loop: Header=BB42_9 Depth=2
	s_and_saveexec_b64 s[52:53], s[18:19]
	s_cbranch_execz .LBB42_61
; %bb.56:                               ;   in Loop: Header=BB42_9 Depth=2
	s_and_saveexec_b64 s[54:55], s[12:13]
	s_cbranch_execz .LBB42_60
; %bb.57:                               ;   in Loop: Header=BB42_9 Depth=2
	s_mov_b64 s[80:81], exec
	v_readlane_b32 s40, v44, 20
	v_readlane_b32 s41, v44, 21
	s_and_b64 s[40:41], s[80:81], s[40:41]
	s_mov_b64 exec, s[40:41]
	s_cbranch_execz .LBB42_59
; %bb.58:                               ;   in Loop: Header=BB42_9 Depth=2
	v_ashrrev_i32_e32 v3, 31, v2
	v_lshlrev_b64 v[36:37], 1, v[2:3]
	v_mov_b32_e32 v3, s79
	v_add_co_u32_e64 v36, s[40:41], s78, v36
	v_add_u32_e32 v35, s83, v30
	v_addc_co_u32_e64 v37, s[40:41], v3, v37, s[40:41]
	global_load_ushort v3, v[36:37], off offset:6
	v_ashrrev_i32_e32 v36, 31, v35
	v_lshlrev_b64 v[35:36], 1, v[35:36]
	v_mov_b32_e32 v37, s75
	v_add_co_u32_e64 v35, s[40:41], s74, v35
	v_addc_co_u32_e64 v36, s[40:41], v37, v36, s[40:41]
	global_load_ushort v35, v[35:36], off
	s_waitcnt vmcnt(0)
	v_fma_mix_f32 v33, v3, v35, v33 op_sel_hi:[1,1,0]
.LBB42_59:                              ;   in Loop: Header=BB42_9 Depth=2
	s_or_b64 exec, exec, s[80:81]
.LBB42_60:                              ;   in Loop: Header=BB42_9 Depth=2
	s_or_b64 exec, exec, s[54:55]
.LBB42_61:                              ;   in Loop: Header=BB42_9 Depth=2
	s_or_b64 exec, exec, s[52:53]
	s_or_b64 exec, exec, s[50:51]
	s_and_saveexec_b64 s[50:51], vcc
	s_cbranch_execz .LBB42_14
.LBB42_62:                              ;   in Loop: Header=BB42_9 Depth=2
	s_and_saveexec_b64 s[52:53], s[20:21]
	s_cbranch_execz .LBB42_68
; %bb.63:                               ;   in Loop: Header=BB42_9 Depth=2
	s_and_saveexec_b64 s[54:55], s[12:13]
	s_cbranch_execz .LBB42_67
; %bb.64:                               ;   in Loop: Header=BB42_9 Depth=2
	s_mov_b64 s[80:81], exec
	v_readlane_b32 s40, v44, 22
	v_readlane_b32 s41, v44, 23
	s_and_b64 s[40:41], s[80:81], s[40:41]
	s_mov_b64 exec, s[40:41]
	s_cbranch_execz .LBB42_66
; %bb.65:                               ;   in Loop: Header=BB42_9 Depth=2
	v_ashrrev_i32_e32 v3, 31, v2
	v_lshlrev_b64 v[36:37], 1, v[2:3]
	v_mov_b32_e32 v3, s79
	v_add_co_u32_e64 v36, s[40:41], s78, v36
	v_add_u32_e32 v35, s83, v29
	v_addc_co_u32_e64 v37, s[40:41], v3, v37, s[40:41]
	global_load_ushort v3, v[36:37], off offset:8
	v_ashrrev_i32_e32 v36, 31, v35
	v_lshlrev_b64 v[35:36], 1, v[35:36]
	v_mov_b32_e32 v37, s75
	v_add_co_u32_e64 v35, s[40:41], s74, v35
	v_addc_co_u32_e64 v36, s[40:41], v37, v36, s[40:41]
	global_load_ushort v35, v[35:36], off
	s_waitcnt vmcnt(0)
	v_fma_mix_f32 v33, v3, v35, v33 op_sel_hi:[1,1,0]
.LBB42_66:                              ;   in Loop: Header=BB42_9 Depth=2
	s_or_b64 exec, exec, s[80:81]
.LBB42_67:                              ;   in Loop: Header=BB42_9 Depth=2
	s_or_b64 exec, exec, s[54:55]
.LBB42_68:                              ;   in Loop: Header=BB42_9 Depth=2
	s_or_b64 exec, exec, s[52:53]
	s_or_b64 exec, exec, s[50:51]
	s_and_saveexec_b64 s[50:51], s[2:3]
	s_cbranch_execz .LBB42_15
.LBB42_69:                              ;   in Loop: Header=BB42_9 Depth=2
	s_and_saveexec_b64 s[52:53], s[10:11]
	s_cbranch_execz .LBB42_75
; %bb.70:                               ;   in Loop: Header=BB42_9 Depth=2
	s_and_saveexec_b64 s[54:55], s[22:23]
	s_cbranch_execz .LBB42_74
; %bb.71:                               ;   in Loop: Header=BB42_9 Depth=2
	s_mov_b64 s[80:81], exec
	v_readlane_b32 s40, v44, 24
	v_readlane_b32 s41, v44, 25
	s_and_b64 s[40:41], s[80:81], s[40:41]
	s_mov_b64 exec, s[40:41]
	s_cbranch_execz .LBB42_73
; %bb.72:                               ;   in Loop: Header=BB42_9 Depth=2
	v_ashrrev_i32_e32 v3, 31, v2
	v_lshlrev_b64 v[36:37], 1, v[2:3]
	v_mov_b32_e32 v3, s79
	v_add_co_u32_e64 v36, s[40:41], s78, v36
	v_add_u32_e32 v35, s83, v28
	v_addc_co_u32_e64 v37, s[40:41], v3, v37, s[40:41]
	global_load_ushort v3, v[36:37], off offset:10
	v_ashrrev_i32_e32 v36, 31, v35
	v_lshlrev_b64 v[35:36], 1, v[35:36]
	v_mov_b32_e32 v37, s75
	v_add_co_u32_e64 v35, s[40:41], s74, v35
	v_addc_co_u32_e64 v36, s[40:41], v37, v36, s[40:41]
	global_load_ushort v35, v[35:36], off
	s_waitcnt vmcnt(0)
	v_fma_mix_f32 v33, v3, v35, v33 op_sel_hi:[1,1,0]
.LBB42_73:                              ;   in Loop: Header=BB42_9 Depth=2
	s_or_b64 exec, exec, s[80:81]
.LBB42_74:                              ;   in Loop: Header=BB42_9 Depth=2
	s_or_b64 exec, exec, s[54:55]
.LBB42_75:                              ;   in Loop: Header=BB42_9 Depth=2
	s_or_b64 exec, exec, s[52:53]
	s_or_b64 exec, exec, s[50:51]
	s_and_saveexec_b64 s[50:51], s[2:3]
	s_cbranch_execz .LBB42_16
.LBB42_76:                              ;   in Loop: Header=BB42_9 Depth=2
	s_and_saveexec_b64 s[52:53], s[14:15]
	s_cbranch_execz .LBB42_82
; %bb.77:                               ;   in Loop: Header=BB42_9 Depth=2
	s_and_saveexec_b64 s[54:55], s[22:23]
	s_cbranch_execz .LBB42_81
; %bb.78:                               ;   in Loop: Header=BB42_9 Depth=2
	s_mov_b64 s[80:81], exec
	v_readlane_b32 s40, v44, 26
	v_readlane_b32 s41, v44, 27
	s_and_b64 s[40:41], s[80:81], s[40:41]
	s_mov_b64 exec, s[40:41]
	s_cbranch_execz .LBB42_80
; %bb.79:                               ;   in Loop: Header=BB42_9 Depth=2
	v_ashrrev_i32_e32 v3, 31, v2
	v_lshlrev_b64 v[36:37], 1, v[2:3]
	v_mov_b32_e32 v3, s79
	v_add_co_u32_e64 v36, s[40:41], s78, v36
	v_add_u32_e32 v35, s83, v27
	v_addc_co_u32_e64 v37, s[40:41], v3, v37, s[40:41]
	global_load_ushort v3, v[36:37], off offset:12
	v_ashrrev_i32_e32 v36, 31, v35
	v_lshlrev_b64 v[35:36], 1, v[35:36]
	v_mov_b32_e32 v37, s75
	v_add_co_u32_e64 v35, s[40:41], s74, v35
	v_addc_co_u32_e64 v36, s[40:41], v37, v36, s[40:41]
	global_load_ushort v35, v[35:36], off
	s_waitcnt vmcnt(0)
	v_fma_mix_f32 v33, v3, v35, v33 op_sel_hi:[1,1,0]
.LBB42_80:                              ;   in Loop: Header=BB42_9 Depth=2
	s_or_b64 exec, exec, s[80:81]
.LBB42_81:                              ;   in Loop: Header=BB42_9 Depth=2
	s_or_b64 exec, exec, s[54:55]
.LBB42_82:                              ;   in Loop: Header=BB42_9 Depth=2
	s_or_b64 exec, exec, s[52:53]
	s_or_b64 exec, exec, s[50:51]
	s_and_saveexec_b64 s[50:51], s[2:3]
	s_cbranch_execz .LBB42_17
.LBB42_83:                              ;   in Loop: Header=BB42_9 Depth=2
	s_and_saveexec_b64 s[52:53], s[16:17]
	s_cbranch_execz .LBB42_89
; %bb.84:                               ;   in Loop: Header=BB42_9 Depth=2
	s_and_saveexec_b64 s[54:55], s[22:23]
	s_cbranch_execz .LBB42_88
; %bb.85:                               ;   in Loop: Header=BB42_9 Depth=2
	s_mov_b64 s[80:81], exec
	v_readlane_b32 s40, v44, 28
	v_readlane_b32 s41, v44, 29
	s_and_b64 s[40:41], s[80:81], s[40:41]
	s_mov_b64 exec, s[40:41]
	s_cbranch_execz .LBB42_87
; %bb.86:                               ;   in Loop: Header=BB42_9 Depth=2
	v_ashrrev_i32_e32 v3, 31, v2
	v_lshlrev_b64 v[36:37], 1, v[2:3]
	v_mov_b32_e32 v3, s79
	v_add_co_u32_e64 v36, s[40:41], s78, v36
	v_add_u32_e32 v35, s83, v26
	v_addc_co_u32_e64 v37, s[40:41], v3, v37, s[40:41]
	global_load_ushort v3, v[36:37], off offset:14
	v_ashrrev_i32_e32 v36, 31, v35
	v_lshlrev_b64 v[35:36], 1, v[35:36]
	v_mov_b32_e32 v37, s75
	v_add_co_u32_e64 v35, s[40:41], s74, v35
	v_addc_co_u32_e64 v36, s[40:41], v37, v36, s[40:41]
	global_load_ushort v35, v[35:36], off
	s_waitcnt vmcnt(0)
	v_fma_mix_f32 v33, v3, v35, v33 op_sel_hi:[1,1,0]
.LBB42_87:                              ;   in Loop: Header=BB42_9 Depth=2
	s_or_b64 exec, exec, s[80:81]
.LBB42_88:                              ;   in Loop: Header=BB42_9 Depth=2
	s_or_b64 exec, exec, s[54:55]
.LBB42_89:                              ;   in Loop: Header=BB42_9 Depth=2
	s_or_b64 exec, exec, s[52:53]
	s_or_b64 exec, exec, s[50:51]
	s_and_saveexec_b64 s[50:51], s[2:3]
	s_cbranch_execz .LBB42_18
.LBB42_90:                              ;   in Loop: Header=BB42_9 Depth=2
	s_and_saveexec_b64 s[52:53], s[18:19]
	s_cbranch_execz .LBB42_96
; %bb.91:                               ;   in Loop: Header=BB42_9 Depth=2
	s_and_saveexec_b64 s[54:55], s[22:23]
	s_cbranch_execz .LBB42_95
; %bb.92:                               ;   in Loop: Header=BB42_9 Depth=2
	s_mov_b64 s[80:81], exec
	v_readlane_b32 s40, v44, 30
	v_readlane_b32 s41, v44, 31
	s_and_b64 s[40:41], s[80:81], s[40:41]
	s_mov_b64 exec, s[40:41]
	s_cbranch_execz .LBB42_94
; %bb.93:                               ;   in Loop: Header=BB42_9 Depth=2
	v_ashrrev_i32_e32 v3, 31, v2
	v_lshlrev_b64 v[36:37], 1, v[2:3]
	v_mov_b32_e32 v3, s79
	v_add_co_u32_e64 v36, s[40:41], s78, v36
	v_add_u32_e32 v35, s83, v25
	v_addc_co_u32_e64 v37, s[40:41], v3, v37, s[40:41]
	global_load_ushort v3, v[36:37], off offset:16
	v_ashrrev_i32_e32 v36, 31, v35
	v_lshlrev_b64 v[35:36], 1, v[35:36]
	v_mov_b32_e32 v37, s75
	v_add_co_u32_e64 v35, s[40:41], s74, v35
	v_addc_co_u32_e64 v36, s[40:41], v37, v36, s[40:41]
	global_load_ushort v35, v[35:36], off
	s_waitcnt vmcnt(0)
	v_fma_mix_f32 v33, v3, v35, v33 op_sel_hi:[1,1,0]
.LBB42_94:                              ;   in Loop: Header=BB42_9 Depth=2
	s_or_b64 exec, exec, s[80:81]
.LBB42_95:                              ;   in Loop: Header=BB42_9 Depth=2
	s_or_b64 exec, exec, s[54:55]
.LBB42_96:                              ;   in Loop: Header=BB42_9 Depth=2
	s_or_b64 exec, exec, s[52:53]
	s_or_b64 exec, exec, s[50:51]
	s_and_saveexec_b64 s[50:51], s[2:3]
	s_cbranch_execz .LBB42_19
.LBB42_97:                              ;   in Loop: Header=BB42_9 Depth=2
	s_and_saveexec_b64 s[52:53], s[20:21]
	s_cbranch_execz .LBB42_103
; %bb.98:                               ;   in Loop: Header=BB42_9 Depth=2
	s_and_saveexec_b64 s[54:55], s[22:23]
	s_cbranch_execz .LBB42_102
; %bb.99:                               ;   in Loop: Header=BB42_9 Depth=2
	s_mov_b64 s[80:81], exec
	v_readlane_b32 s40, v44, 32
	v_readlane_b32 s41, v44, 33
	s_and_b64 s[40:41], s[80:81], s[40:41]
	s_mov_b64 exec, s[40:41]
	s_cbranch_execz .LBB42_101
; %bb.100:                              ;   in Loop: Header=BB42_9 Depth=2
	v_ashrrev_i32_e32 v3, 31, v2
	v_lshlrev_b64 v[36:37], 1, v[2:3]
	v_mov_b32_e32 v3, s79
	v_add_co_u32_e64 v36, s[40:41], s78, v36
	v_add_u32_e32 v35, s83, v24
	v_addc_co_u32_e64 v37, s[40:41], v3, v37, s[40:41]
	global_load_ushort v3, v[36:37], off offset:18
	v_ashrrev_i32_e32 v36, 31, v35
	v_lshlrev_b64 v[35:36], 1, v[35:36]
	v_mov_b32_e32 v37, s75
	v_add_co_u32_e64 v35, s[40:41], s74, v35
	v_addc_co_u32_e64 v36, s[40:41], v37, v36, s[40:41]
	global_load_ushort v35, v[35:36], off
	s_waitcnt vmcnt(0)
	v_fma_mix_f32 v33, v3, v35, v33 op_sel_hi:[1,1,0]
.LBB42_101:                             ;   in Loop: Header=BB42_9 Depth=2
	s_or_b64 exec, exec, s[80:81]
.LBB42_102:                             ;   in Loop: Header=BB42_9 Depth=2
	s_or_b64 exec, exec, s[54:55]
.LBB42_103:                             ;   in Loop: Header=BB42_9 Depth=2
	s_or_b64 exec, exec, s[52:53]
	s_or_b64 exec, exec, s[50:51]
	s_and_saveexec_b64 s[50:51], s[4:5]
	s_cbranch_execz .LBB42_20
.LBB42_104:                             ;   in Loop: Header=BB42_9 Depth=2
	s_and_saveexec_b64 s[52:53], s[10:11]
	s_cbranch_execz .LBB42_110
; %bb.105:                              ;   in Loop: Header=BB42_9 Depth=2
	s_and_saveexec_b64 s[54:55], s[24:25]
	s_cbranch_execz .LBB42_109
; %bb.106:                              ;   in Loop: Header=BB42_9 Depth=2
	s_mov_b64 s[80:81], exec
	v_readlane_b32 s40, v44, 34
	v_readlane_b32 s41, v44, 35
	s_and_b64 s[40:41], s[80:81], s[40:41]
	s_mov_b64 exec, s[40:41]
	s_cbranch_execz .LBB42_108
; %bb.107:                              ;   in Loop: Header=BB42_9 Depth=2
	v_ashrrev_i32_e32 v3, 31, v2
	v_lshlrev_b64 v[36:37], 1, v[2:3]
	v_mov_b32_e32 v3, s79
	v_add_co_u32_e64 v36, s[40:41], s78, v36
	v_add_u32_e32 v35, s83, v23
	v_addc_co_u32_e64 v37, s[40:41], v3, v37, s[40:41]
	global_load_ushort v3, v[36:37], off offset:20
	v_ashrrev_i32_e32 v36, 31, v35
	v_lshlrev_b64 v[35:36], 1, v[35:36]
	v_mov_b32_e32 v37, s75
	v_add_co_u32_e64 v35, s[40:41], s74, v35
	v_addc_co_u32_e64 v36, s[40:41], v37, v36, s[40:41]
	global_load_ushort v35, v[35:36], off
	s_waitcnt vmcnt(0)
	v_fma_mix_f32 v33, v3, v35, v33 op_sel_hi:[1,1,0]
.LBB42_108:                             ;   in Loop: Header=BB42_9 Depth=2
	s_or_b64 exec, exec, s[80:81]
.LBB42_109:                             ;   in Loop: Header=BB42_9 Depth=2
	s_or_b64 exec, exec, s[54:55]
.LBB42_110:                             ;   in Loop: Header=BB42_9 Depth=2
	s_or_b64 exec, exec, s[52:53]
	s_or_b64 exec, exec, s[50:51]
	s_and_saveexec_b64 s[50:51], s[4:5]
	s_cbranch_execz .LBB42_21
.LBB42_111:                             ;   in Loop: Header=BB42_9 Depth=2
	s_and_saveexec_b64 s[52:53], s[14:15]
	s_cbranch_execz .LBB42_117
; %bb.112:                              ;   in Loop: Header=BB42_9 Depth=2
	s_and_saveexec_b64 s[54:55], s[24:25]
	s_cbranch_execz .LBB42_116
; %bb.113:                              ;   in Loop: Header=BB42_9 Depth=2
	s_mov_b64 s[80:81], exec
	v_readlane_b32 s40, v44, 36
	v_readlane_b32 s41, v44, 37
	s_and_b64 s[40:41], s[80:81], s[40:41]
	s_mov_b64 exec, s[40:41]
	s_cbranch_execz .LBB42_115
; %bb.114:                              ;   in Loop: Header=BB42_9 Depth=2
	v_ashrrev_i32_e32 v3, 31, v2
	v_lshlrev_b64 v[36:37], 1, v[2:3]
	v_mov_b32_e32 v3, s79
	v_add_co_u32_e64 v36, s[40:41], s78, v36
	v_add_u32_e32 v35, s83, v22
	v_addc_co_u32_e64 v37, s[40:41], v3, v37, s[40:41]
	global_load_ushort v3, v[36:37], off offset:22
	v_ashrrev_i32_e32 v36, 31, v35
	v_lshlrev_b64 v[35:36], 1, v[35:36]
	v_mov_b32_e32 v37, s75
	v_add_co_u32_e64 v35, s[40:41], s74, v35
	v_addc_co_u32_e64 v36, s[40:41], v37, v36, s[40:41]
	global_load_ushort v35, v[35:36], off
	s_waitcnt vmcnt(0)
	v_fma_mix_f32 v33, v3, v35, v33 op_sel_hi:[1,1,0]
.LBB42_115:                             ;   in Loop: Header=BB42_9 Depth=2
	s_or_b64 exec, exec, s[80:81]
.LBB42_116:                             ;   in Loop: Header=BB42_9 Depth=2
	s_or_b64 exec, exec, s[54:55]
.LBB42_117:                             ;   in Loop: Header=BB42_9 Depth=2
	s_or_b64 exec, exec, s[52:53]
	s_or_b64 exec, exec, s[50:51]
	s_and_saveexec_b64 s[50:51], s[4:5]
	s_cbranch_execz .LBB42_22
.LBB42_118:                             ;   in Loop: Header=BB42_9 Depth=2
	s_and_saveexec_b64 s[52:53], s[16:17]
	s_cbranch_execz .LBB42_124
; %bb.119:                              ;   in Loop: Header=BB42_9 Depth=2
	s_and_saveexec_b64 s[54:55], s[24:25]
	s_cbranch_execz .LBB42_123
; %bb.120:                              ;   in Loop: Header=BB42_9 Depth=2
	s_mov_b64 s[80:81], exec
	v_readlane_b32 s40, v44, 38
	v_readlane_b32 s41, v44, 39
	s_and_b64 s[40:41], s[80:81], s[40:41]
	s_mov_b64 exec, s[40:41]
	s_cbranch_execz .LBB42_122
; %bb.121:                              ;   in Loop: Header=BB42_9 Depth=2
	v_ashrrev_i32_e32 v3, 31, v2
	v_lshlrev_b64 v[36:37], 1, v[2:3]
	v_mov_b32_e32 v3, s79
	v_add_co_u32_e64 v36, s[40:41], s78, v36
	v_add_u32_e32 v35, s83, v21
	v_addc_co_u32_e64 v37, s[40:41], v3, v37, s[40:41]
	global_load_ushort v3, v[36:37], off offset:24
	v_ashrrev_i32_e32 v36, 31, v35
	v_lshlrev_b64 v[35:36], 1, v[35:36]
	v_mov_b32_e32 v37, s75
	v_add_co_u32_e64 v35, s[40:41], s74, v35
	v_addc_co_u32_e64 v36, s[40:41], v37, v36, s[40:41]
	global_load_ushort v35, v[35:36], off
	s_waitcnt vmcnt(0)
	v_fma_mix_f32 v33, v3, v35, v33 op_sel_hi:[1,1,0]
.LBB42_122:                             ;   in Loop: Header=BB42_9 Depth=2
	s_or_b64 exec, exec, s[80:81]
.LBB42_123:                             ;   in Loop: Header=BB42_9 Depth=2
	s_or_b64 exec, exec, s[54:55]
.LBB42_124:                             ;   in Loop: Header=BB42_9 Depth=2
	s_or_b64 exec, exec, s[52:53]
	s_or_b64 exec, exec, s[50:51]
	s_and_saveexec_b64 s[50:51], s[4:5]
	s_cbranch_execz .LBB42_23
.LBB42_125:                             ;   in Loop: Header=BB42_9 Depth=2
	s_and_saveexec_b64 s[52:53], s[18:19]
	s_cbranch_execz .LBB42_131
; %bb.126:                              ;   in Loop: Header=BB42_9 Depth=2
	s_and_saveexec_b64 s[54:55], s[24:25]
	s_cbranch_execz .LBB42_130
; %bb.127:                              ;   in Loop: Header=BB42_9 Depth=2
	s_mov_b64 s[80:81], exec
	v_readlane_b32 s40, v44, 40
	v_readlane_b32 s41, v44, 41
	s_and_b64 s[40:41], s[80:81], s[40:41]
	s_mov_b64 exec, s[40:41]
	s_cbranch_execz .LBB42_129
; %bb.128:                              ;   in Loop: Header=BB42_9 Depth=2
	v_ashrrev_i32_e32 v3, 31, v2
	v_lshlrev_b64 v[36:37], 1, v[2:3]
	v_mov_b32_e32 v3, s79
	v_add_co_u32_e64 v36, s[40:41], s78, v36
	v_add_u32_e32 v35, s83, v20
	v_addc_co_u32_e64 v37, s[40:41], v3, v37, s[40:41]
	global_load_ushort v3, v[36:37], off offset:26
	v_ashrrev_i32_e32 v36, 31, v35
	v_lshlrev_b64 v[35:36], 1, v[35:36]
	v_mov_b32_e32 v37, s75
	v_add_co_u32_e64 v35, s[40:41], s74, v35
	v_addc_co_u32_e64 v36, s[40:41], v37, v36, s[40:41]
	global_load_ushort v35, v[35:36], off
	s_waitcnt vmcnt(0)
	v_fma_mix_f32 v33, v3, v35, v33 op_sel_hi:[1,1,0]
.LBB42_129:                             ;   in Loop: Header=BB42_9 Depth=2
	s_or_b64 exec, exec, s[80:81]
.LBB42_130:                             ;   in Loop: Header=BB42_9 Depth=2
	s_or_b64 exec, exec, s[54:55]
.LBB42_131:                             ;   in Loop: Header=BB42_9 Depth=2
	s_or_b64 exec, exec, s[52:53]
	s_or_b64 exec, exec, s[50:51]
	s_and_saveexec_b64 s[50:51], s[4:5]
	s_cbranch_execz .LBB42_24
.LBB42_132:                             ;   in Loop: Header=BB42_9 Depth=2
	s_and_saveexec_b64 s[52:53], s[20:21]
	s_cbranch_execz .LBB42_138
; %bb.133:                              ;   in Loop: Header=BB42_9 Depth=2
	s_and_saveexec_b64 s[54:55], s[24:25]
	s_cbranch_execz .LBB42_137
; %bb.134:                              ;   in Loop: Header=BB42_9 Depth=2
	;; [unrolled: 3-line block ×3, first 2 shown]
	v_ashrrev_i32_e32 v3, 31, v2
	v_lshlrev_b64 v[36:37], 1, v[2:3]
	v_mov_b32_e32 v3, s79
	v_add_co_u32_e64 v36, s[40:41], s78, v36
	v_add_u32_e32 v35, s83, v19
	v_addc_co_u32_e64 v37, s[40:41], v3, v37, s[40:41]
	global_load_ushort v3, v[36:37], off offset:28
	v_ashrrev_i32_e32 v36, 31, v35
	v_lshlrev_b64 v[35:36], 1, v[35:36]
	v_mov_b32_e32 v37, s75
	v_add_co_u32_e64 v35, s[40:41], s74, v35
	v_addc_co_u32_e64 v36, s[40:41], v37, v36, s[40:41]
	global_load_ushort v35, v[35:36], off
	s_waitcnt vmcnt(0)
	v_fma_mix_f32 v33, v3, v35, v33 op_sel_hi:[1,1,0]
.LBB42_136:                             ;   in Loop: Header=BB42_9 Depth=2
	s_or_b64 exec, exec, s[80:81]
.LBB42_137:                             ;   in Loop: Header=BB42_9 Depth=2
	s_or_b64 exec, exec, s[54:55]
.LBB42_138:                             ;   in Loop: Header=BB42_9 Depth=2
	s_or_b64 exec, exec, s[52:53]
	s_or_b64 exec, exec, s[50:51]
	s_and_saveexec_b64 s[50:51], s[6:7]
	s_cbranch_execz .LBB42_25
.LBB42_139:                             ;   in Loop: Header=BB42_9 Depth=2
	s_and_saveexec_b64 s[52:53], s[10:11]
	s_cbranch_execz .LBB42_145
; %bb.140:                              ;   in Loop: Header=BB42_9 Depth=2
	s_and_saveexec_b64 s[54:55], s[26:27]
	s_cbranch_execz .LBB42_144
; %bb.141:                              ;   in Loop: Header=BB42_9 Depth=2
	;; [unrolled: 3-line block ×3, first 2 shown]
	v_ashrrev_i32_e32 v3, 31, v2
	v_lshlrev_b64 v[36:37], 1, v[2:3]
	v_mov_b32_e32 v3, s79
	v_add_co_u32_e64 v36, s[40:41], s78, v36
	v_add_u32_e32 v35, s83, v18
	v_addc_co_u32_e64 v37, s[40:41], v3, v37, s[40:41]
	global_load_ushort v3, v[36:37], off offset:30
	v_ashrrev_i32_e32 v36, 31, v35
	v_lshlrev_b64 v[35:36], 1, v[35:36]
	v_mov_b32_e32 v37, s75
	v_add_co_u32_e64 v35, s[40:41], s74, v35
	v_addc_co_u32_e64 v36, s[40:41], v37, v36, s[40:41]
	global_load_ushort v35, v[35:36], off
	s_waitcnt vmcnt(0)
	v_fma_mix_f32 v33, v3, v35, v33 op_sel_hi:[1,1,0]
.LBB42_143:                             ;   in Loop: Header=BB42_9 Depth=2
	s_or_b64 exec, exec, s[80:81]
.LBB42_144:                             ;   in Loop: Header=BB42_9 Depth=2
	s_or_b64 exec, exec, s[54:55]
.LBB42_145:                             ;   in Loop: Header=BB42_9 Depth=2
	s_or_b64 exec, exec, s[52:53]
	s_or_b64 exec, exec, s[50:51]
	s_and_saveexec_b64 s[50:51], s[6:7]
	s_cbranch_execz .LBB42_26
.LBB42_146:                             ;   in Loop: Header=BB42_9 Depth=2
	s_and_saveexec_b64 s[52:53], s[14:15]
	s_cbranch_execz .LBB42_152
; %bb.147:                              ;   in Loop: Header=BB42_9 Depth=2
	s_and_saveexec_b64 s[54:55], s[26:27]
	s_cbranch_execz .LBB42_151
; %bb.148:                              ;   in Loop: Header=BB42_9 Depth=2
	;; [unrolled: 3-line block ×3, first 2 shown]
	v_ashrrev_i32_e32 v3, 31, v2
	v_lshlrev_b64 v[36:37], 1, v[2:3]
	v_mov_b32_e32 v3, s79
	v_add_co_u32_e64 v36, s[40:41], s78, v36
	v_add_u32_e32 v35, s83, v17
	v_addc_co_u32_e64 v37, s[40:41], v3, v37, s[40:41]
	global_load_ushort v3, v[36:37], off offset:32
	v_ashrrev_i32_e32 v36, 31, v35
	v_lshlrev_b64 v[35:36], 1, v[35:36]
	v_mov_b32_e32 v37, s75
	v_add_co_u32_e64 v35, s[40:41], s74, v35
	v_addc_co_u32_e64 v36, s[40:41], v37, v36, s[40:41]
	global_load_ushort v35, v[35:36], off
	s_waitcnt vmcnt(0)
	v_fma_mix_f32 v33, v3, v35, v33 op_sel_hi:[1,1,0]
.LBB42_150:                             ;   in Loop: Header=BB42_9 Depth=2
	s_or_b64 exec, exec, s[80:81]
.LBB42_151:                             ;   in Loop: Header=BB42_9 Depth=2
	s_or_b64 exec, exec, s[54:55]
.LBB42_152:                             ;   in Loop: Header=BB42_9 Depth=2
	s_or_b64 exec, exec, s[52:53]
	s_or_b64 exec, exec, s[50:51]
	s_and_saveexec_b64 s[50:51], s[6:7]
	s_cbranch_execz .LBB42_27
.LBB42_153:                             ;   in Loop: Header=BB42_9 Depth=2
	s_and_saveexec_b64 s[52:53], s[16:17]
	s_cbranch_execz .LBB42_159
; %bb.154:                              ;   in Loop: Header=BB42_9 Depth=2
	s_and_saveexec_b64 s[54:55], s[26:27]
	s_cbranch_execz .LBB42_158
; %bb.155:                              ;   in Loop: Header=BB42_9 Depth=2
	;; [unrolled: 3-line block ×3, first 2 shown]
	v_ashrrev_i32_e32 v3, 31, v2
	v_lshlrev_b64 v[36:37], 1, v[2:3]
	v_mov_b32_e32 v3, s79
	v_add_co_u32_e64 v36, s[40:41], s78, v36
	v_add_u32_e32 v35, s83, v16
	v_addc_co_u32_e64 v37, s[40:41], v3, v37, s[40:41]
	global_load_ushort v3, v[36:37], off offset:34
	v_ashrrev_i32_e32 v36, 31, v35
	v_lshlrev_b64 v[35:36], 1, v[35:36]
	v_mov_b32_e32 v37, s75
	v_add_co_u32_e64 v35, s[40:41], s74, v35
	v_addc_co_u32_e64 v36, s[40:41], v37, v36, s[40:41]
	global_load_ushort v35, v[35:36], off
	s_waitcnt vmcnt(0)
	v_fma_mix_f32 v33, v3, v35, v33 op_sel_hi:[1,1,0]
.LBB42_157:                             ;   in Loop: Header=BB42_9 Depth=2
	s_or_b64 exec, exec, s[80:81]
.LBB42_158:                             ;   in Loop: Header=BB42_9 Depth=2
	s_or_b64 exec, exec, s[54:55]
.LBB42_159:                             ;   in Loop: Header=BB42_9 Depth=2
	s_or_b64 exec, exec, s[52:53]
	s_or_b64 exec, exec, s[50:51]
	s_and_saveexec_b64 s[50:51], s[6:7]
	s_cbranch_execz .LBB42_28
.LBB42_160:                             ;   in Loop: Header=BB42_9 Depth=2
	s_and_saveexec_b64 s[52:53], s[18:19]
	s_cbranch_execz .LBB42_166
; %bb.161:                              ;   in Loop: Header=BB42_9 Depth=2
	s_and_saveexec_b64 s[54:55], s[26:27]
	s_cbranch_execz .LBB42_165
; %bb.162:                              ;   in Loop: Header=BB42_9 Depth=2
	;; [unrolled: 3-line block ×3, first 2 shown]
	v_ashrrev_i32_e32 v3, 31, v2
	v_lshlrev_b64 v[36:37], 1, v[2:3]
	v_mov_b32_e32 v3, s79
	v_add_co_u32_e64 v36, s[40:41], s78, v36
	v_add_u32_e32 v35, s83, v15
	v_addc_co_u32_e64 v37, s[40:41], v3, v37, s[40:41]
	global_load_ushort v3, v[36:37], off offset:36
	v_ashrrev_i32_e32 v36, 31, v35
	v_lshlrev_b64 v[35:36], 1, v[35:36]
	v_mov_b32_e32 v37, s75
	v_add_co_u32_e64 v35, s[40:41], s74, v35
	v_addc_co_u32_e64 v36, s[40:41], v37, v36, s[40:41]
	global_load_ushort v35, v[35:36], off
	s_waitcnt vmcnt(0)
	v_fma_mix_f32 v33, v3, v35, v33 op_sel_hi:[1,1,0]
.LBB42_164:                             ;   in Loop: Header=BB42_9 Depth=2
	s_or_b64 exec, exec, s[80:81]
.LBB42_165:                             ;   in Loop: Header=BB42_9 Depth=2
	s_or_b64 exec, exec, s[54:55]
.LBB42_166:                             ;   in Loop: Header=BB42_9 Depth=2
	s_or_b64 exec, exec, s[52:53]
	s_or_b64 exec, exec, s[50:51]
	s_and_saveexec_b64 s[50:51], s[6:7]
	s_cbranch_execz .LBB42_29
.LBB42_167:                             ;   in Loop: Header=BB42_9 Depth=2
	s_and_saveexec_b64 s[52:53], s[20:21]
	s_cbranch_execz .LBB42_173
; %bb.168:                              ;   in Loop: Header=BB42_9 Depth=2
	s_and_saveexec_b64 s[54:55], s[26:27]
	s_cbranch_execz .LBB42_172
; %bb.169:                              ;   in Loop: Header=BB42_9 Depth=2
	;; [unrolled: 3-line block ×3, first 2 shown]
	v_ashrrev_i32_e32 v3, 31, v2
	v_lshlrev_b64 v[36:37], 1, v[2:3]
	v_mov_b32_e32 v3, s79
	v_add_co_u32_e64 v36, s[40:41], s78, v36
	v_add_u32_e32 v35, s83, v14
	v_addc_co_u32_e64 v37, s[40:41], v3, v37, s[40:41]
	global_load_ushort v3, v[36:37], off offset:38
	v_ashrrev_i32_e32 v36, 31, v35
	v_lshlrev_b64 v[35:36], 1, v[35:36]
	v_mov_b32_e32 v37, s75
	v_add_co_u32_e64 v35, s[40:41], s74, v35
	v_addc_co_u32_e64 v36, s[40:41], v37, v36, s[40:41]
	global_load_ushort v35, v[35:36], off
	s_waitcnt vmcnt(0)
	v_fma_mix_f32 v33, v3, v35, v33 op_sel_hi:[1,1,0]
.LBB42_171:                             ;   in Loop: Header=BB42_9 Depth=2
	s_or_b64 exec, exec, s[80:81]
.LBB42_172:                             ;   in Loop: Header=BB42_9 Depth=2
	s_or_b64 exec, exec, s[54:55]
.LBB42_173:                             ;   in Loop: Header=BB42_9 Depth=2
	s_or_b64 exec, exec, s[52:53]
	s_or_b64 exec, exec, s[50:51]
	s_and_saveexec_b64 s[50:51], s[8:9]
	s_cbranch_execz .LBB42_30
.LBB42_174:                             ;   in Loop: Header=BB42_9 Depth=2
	s_and_saveexec_b64 s[52:53], s[28:29]
	s_cbranch_execz .LBB42_180
; %bb.175:                              ;   in Loop: Header=BB42_9 Depth=2
	s_and_saveexec_b64 s[54:55], s[30:31]
	s_cbranch_execz .LBB42_179
; %bb.176:                              ;   in Loop: Header=BB42_9 Depth=2
	;; [unrolled: 3-line block ×3, first 2 shown]
	v_ashrrev_i32_e32 v3, 31, v2
	v_lshlrev_b64 v[36:37], 1, v[2:3]
	v_mov_b32_e32 v3, s79
	v_add_co_u32_e64 v36, s[40:41], s78, v36
	v_add_u32_e32 v35, s83, v13
	v_addc_co_u32_e64 v37, s[40:41], v3, v37, s[40:41]
	global_load_ushort v3, v[36:37], off offset:40
	v_ashrrev_i32_e32 v36, 31, v35
	v_lshlrev_b64 v[35:36], 1, v[35:36]
	v_mov_b32_e32 v37, s75
	v_add_co_u32_e64 v35, s[40:41], s74, v35
	v_addc_co_u32_e64 v36, s[40:41], v37, v36, s[40:41]
	global_load_ushort v35, v[35:36], off
	s_waitcnt vmcnt(0)
	v_fma_mix_f32 v33, v3, v35, v33 op_sel_hi:[1,1,0]
.LBB42_178:                             ;   in Loop: Header=BB42_9 Depth=2
	s_or_b64 exec, exec, s[80:81]
.LBB42_179:                             ;   in Loop: Header=BB42_9 Depth=2
	s_or_b64 exec, exec, s[54:55]
.LBB42_180:                             ;   in Loop: Header=BB42_9 Depth=2
	s_or_b64 exec, exec, s[52:53]
	s_or_b64 exec, exec, s[50:51]
	s_and_saveexec_b64 s[50:51], s[8:9]
	s_cbranch_execz .LBB42_31
.LBB42_181:                             ;   in Loop: Header=BB42_9 Depth=2
	s_and_saveexec_b64 s[52:53], s[34:35]
	s_cbranch_execz .LBB42_187
; %bb.182:                              ;   in Loop: Header=BB42_9 Depth=2
	s_and_saveexec_b64 s[54:55], s[30:31]
	s_cbranch_execz .LBB42_186
; %bb.183:                              ;   in Loop: Header=BB42_9 Depth=2
	;; [unrolled: 3-line block ×3, first 2 shown]
	v_ashrrev_i32_e32 v3, 31, v2
	v_lshlrev_b64 v[36:37], 1, v[2:3]
	v_mov_b32_e32 v3, s79
	v_add_co_u32_e64 v36, s[40:41], s78, v36
	v_add_u32_e32 v35, s83, v12
	v_addc_co_u32_e64 v37, s[40:41], v3, v37, s[40:41]
	global_load_ushort v3, v[36:37], off offset:42
	v_ashrrev_i32_e32 v36, 31, v35
	v_lshlrev_b64 v[35:36], 1, v[35:36]
	v_mov_b32_e32 v37, s75
	v_add_co_u32_e64 v35, s[40:41], s74, v35
	v_addc_co_u32_e64 v36, s[40:41], v37, v36, s[40:41]
	global_load_ushort v35, v[35:36], off
	s_waitcnt vmcnt(0)
	v_fma_mix_f32 v33, v3, v35, v33 op_sel_hi:[1,1,0]
.LBB42_185:                             ;   in Loop: Header=BB42_9 Depth=2
	s_or_b64 exec, exec, s[80:81]
.LBB42_186:                             ;   in Loop: Header=BB42_9 Depth=2
	s_or_b64 exec, exec, s[54:55]
.LBB42_187:                             ;   in Loop: Header=BB42_9 Depth=2
	s_or_b64 exec, exec, s[52:53]
	s_or_b64 exec, exec, s[50:51]
	s_and_saveexec_b64 s[50:51], s[8:9]
	s_cbranch_execz .LBB42_32
.LBB42_188:                             ;   in Loop: Header=BB42_9 Depth=2
	s_and_saveexec_b64 s[52:53], s[36:37]
	s_cbranch_execz .LBB42_194
; %bb.189:                              ;   in Loop: Header=BB42_9 Depth=2
	s_and_saveexec_b64 s[54:55], s[30:31]
	s_cbranch_execz .LBB42_193
; %bb.190:                              ;   in Loop: Header=BB42_9 Depth=2
	;; [unrolled: 3-line block ×3, first 2 shown]
	v_ashrrev_i32_e32 v3, 31, v2
	v_lshlrev_b64 v[36:37], 1, v[2:3]
	v_mov_b32_e32 v3, s79
	v_add_co_u32_e64 v36, s[40:41], s78, v36
	v_add_u32_e32 v35, s83, v11
	v_addc_co_u32_e64 v37, s[40:41], v3, v37, s[40:41]
	global_load_ushort v3, v[36:37], off offset:44
	v_ashrrev_i32_e32 v36, 31, v35
	v_lshlrev_b64 v[35:36], 1, v[35:36]
	v_mov_b32_e32 v37, s75
	v_add_co_u32_e64 v35, s[40:41], s74, v35
	v_addc_co_u32_e64 v36, s[40:41], v37, v36, s[40:41]
	global_load_ushort v35, v[35:36], off
	s_waitcnt vmcnt(0)
	v_fma_mix_f32 v33, v3, v35, v33 op_sel_hi:[1,1,0]
.LBB42_192:                             ;   in Loop: Header=BB42_9 Depth=2
	s_or_b64 exec, exec, s[80:81]
.LBB42_193:                             ;   in Loop: Header=BB42_9 Depth=2
	s_or_b64 exec, exec, s[54:55]
.LBB42_194:                             ;   in Loop: Header=BB42_9 Depth=2
	s_or_b64 exec, exec, s[52:53]
	s_or_b64 exec, exec, s[50:51]
	s_and_saveexec_b64 s[50:51], s[8:9]
	s_cbranch_execz .LBB42_33
.LBB42_195:                             ;   in Loop: Header=BB42_9 Depth=2
	s_and_saveexec_b64 s[52:53], s[38:39]
	s_cbranch_execz .LBB42_201
; %bb.196:                              ;   in Loop: Header=BB42_9 Depth=2
	s_and_saveexec_b64 s[54:55], s[30:31]
	s_cbranch_execz .LBB42_200
; %bb.197:                              ;   in Loop: Header=BB42_9 Depth=2
	;; [unrolled: 3-line block ×3, first 2 shown]
	v_ashrrev_i32_e32 v3, 31, v2
	v_lshlrev_b64 v[36:37], 1, v[2:3]
	v_mov_b32_e32 v3, s79
	v_add_co_u32_e64 v36, s[40:41], s78, v36
	v_add_u32_e32 v35, s83, v10
	v_addc_co_u32_e64 v37, s[40:41], v3, v37, s[40:41]
	global_load_ushort v3, v[36:37], off offset:46
	v_ashrrev_i32_e32 v36, 31, v35
	v_lshlrev_b64 v[35:36], 1, v[35:36]
	v_mov_b32_e32 v37, s75
	v_add_co_u32_e64 v35, s[40:41], s74, v35
	v_addc_co_u32_e64 v36, s[40:41], v37, v36, s[40:41]
	global_load_ushort v35, v[35:36], off
	s_waitcnt vmcnt(0)
	v_fma_mix_f32 v33, v3, v35, v33 op_sel_hi:[1,1,0]
.LBB42_199:                             ;   in Loop: Header=BB42_9 Depth=2
	s_or_b64 exec, exec, s[80:81]
.LBB42_200:                             ;   in Loop: Header=BB42_9 Depth=2
	s_or_b64 exec, exec, s[54:55]
.LBB42_201:                             ;   in Loop: Header=BB42_9 Depth=2
	s_or_b64 exec, exec, s[52:53]
	s_or_b64 exec, exec, s[50:51]
	s_and_saveexec_b64 s[50:51], s[8:9]
	s_cbranch_execz .LBB42_8
.LBB42_202:                             ;   in Loop: Header=BB42_9 Depth=2
	s_and_saveexec_b64 s[52:53], s[46:47]
	s_cbranch_execz .LBB42_7
; %bb.203:                              ;   in Loop: Header=BB42_9 Depth=2
	s_and_saveexec_b64 s[54:55], s[48:49]
	s_cbranch_execz .LBB42_6
; %bb.204:                              ;   in Loop: Header=BB42_9 Depth=2
	v_ashrrev_i32_e32 v3, 31, v2
	v_lshlrev_b64 v[36:37], 1, v[2:3]
	v_mov_b32_e32 v3, s79
	v_add_co_u32_e64 v36, s[40:41], s78, v36
	v_add_u32_e32 v35, s83, v9
	v_addc_co_u32_e64 v37, s[40:41], v3, v37, s[40:41]
	global_load_ushort v3, v[36:37], off offset:48
	v_ashrrev_i32_e32 v36, 31, v35
	v_lshlrev_b64 v[35:36], 1, v[35:36]
	v_mov_b32_e32 v37, s75
	v_add_co_u32_e64 v35, s[40:41], s74, v35
	v_addc_co_u32_e64 v36, s[40:41], v37, v36, s[40:41]
	global_load_ushort v35, v[35:36], off
	s_waitcnt vmcnt(0)
	v_fma_mix_f32 v33, v3, v35, v33 op_sel_hi:[1,1,0]
	s_branch .LBB42_6
.LBB42_205:                             ;   in Loop: Header=BB42_4 Depth=1
	v_mov_b32_e32 v2, 0
	s_branch .LBB42_3
.LBB42_206:
	s_endpgm
	.section	.rodata,"a",@progbits
	.p2align	6, 0x0
	.amdhsa_kernel _ZN2at6native12_GLOBAL__N_132conv_depthwise2d_backward_kernelILi5ELi0EN3c104HalfEiEEvN5torch10headeronly6detail27GenericPackedTensorAccessorINS7_14TensorAccessorINS3_8ArrayRefIlEEKT1_Lm3ENS6_16DefaultPtrTraitsEiEENS_6detail16IndexBoundsCheckILm4EiEESD_Lm4ESE_iEENS8_INS9_ISB_SC_Lm3ESE_iEESI_SC_Lm4ESE_iEESJ_T2_iiiiiiiiiiiiiii
		.amdhsa_group_segment_fixed_size 0
		.amdhsa_private_segment_fixed_size 0
		.amdhsa_kernarg_size 440
		.amdhsa_user_sgpr_count 6
		.amdhsa_user_sgpr_private_segment_buffer 1
		.amdhsa_user_sgpr_dispatch_ptr 0
		.amdhsa_user_sgpr_queue_ptr 0
		.amdhsa_user_sgpr_kernarg_segment_ptr 1
		.amdhsa_user_sgpr_dispatch_id 0
		.amdhsa_user_sgpr_flat_scratch_init 0
		.amdhsa_user_sgpr_private_segment_size 0
		.amdhsa_uses_dynamic_stack 0
		.amdhsa_system_sgpr_private_segment_wavefront_offset 0
		.amdhsa_system_sgpr_workgroup_id_x 1
		.amdhsa_system_sgpr_workgroup_id_y 0
		.amdhsa_system_sgpr_workgroup_id_z 0
		.amdhsa_system_sgpr_workgroup_info 0
		.amdhsa_system_vgpr_workitem_id 0
		.amdhsa_next_free_vgpr 45
		.amdhsa_next_free_sgpr 96
		.amdhsa_reserve_vcc 1
		.amdhsa_reserve_flat_scratch 0
		.amdhsa_float_round_mode_32 0
		.amdhsa_float_round_mode_16_64 0
		.amdhsa_float_denorm_mode_32 3
		.amdhsa_float_denorm_mode_16_64 3
		.amdhsa_dx10_clamp 1
		.amdhsa_ieee_mode 1
		.amdhsa_fp16_overflow 0
		.amdhsa_exception_fp_ieee_invalid_op 0
		.amdhsa_exception_fp_denorm_src 0
		.amdhsa_exception_fp_ieee_div_zero 0
		.amdhsa_exception_fp_ieee_overflow 0
		.amdhsa_exception_fp_ieee_underflow 0
		.amdhsa_exception_fp_ieee_inexact 0
		.amdhsa_exception_int_div_zero 0
	.end_amdhsa_kernel
	.section	.text._ZN2at6native12_GLOBAL__N_132conv_depthwise2d_backward_kernelILi5ELi0EN3c104HalfEiEEvN5torch10headeronly6detail27GenericPackedTensorAccessorINS7_14TensorAccessorINS3_8ArrayRefIlEEKT1_Lm3ENS6_16DefaultPtrTraitsEiEENS_6detail16IndexBoundsCheckILm4EiEESD_Lm4ESE_iEENS8_INS9_ISB_SC_Lm3ESE_iEESI_SC_Lm4ESE_iEESJ_T2_iiiiiiiiiiiiiii,"axG",@progbits,_ZN2at6native12_GLOBAL__N_132conv_depthwise2d_backward_kernelILi5ELi0EN3c104HalfEiEEvN5torch10headeronly6detail27GenericPackedTensorAccessorINS7_14TensorAccessorINS3_8ArrayRefIlEEKT1_Lm3ENS6_16DefaultPtrTraitsEiEENS_6detail16IndexBoundsCheckILm4EiEESD_Lm4ESE_iEENS8_INS9_ISB_SC_Lm3ESE_iEESI_SC_Lm4ESE_iEESJ_T2_iiiiiiiiiiiiiii,comdat
.Lfunc_end42:
	.size	_ZN2at6native12_GLOBAL__N_132conv_depthwise2d_backward_kernelILi5ELi0EN3c104HalfEiEEvN5torch10headeronly6detail27GenericPackedTensorAccessorINS7_14TensorAccessorINS3_8ArrayRefIlEEKT1_Lm3ENS6_16DefaultPtrTraitsEiEENS_6detail16IndexBoundsCheckILm4EiEESD_Lm4ESE_iEENS8_INS9_ISB_SC_Lm3ESE_iEESI_SC_Lm4ESE_iEESJ_T2_iiiiiiiiiiiiiii, .Lfunc_end42-_ZN2at6native12_GLOBAL__N_132conv_depthwise2d_backward_kernelILi5ELi0EN3c104HalfEiEEvN5torch10headeronly6detail27GenericPackedTensorAccessorINS7_14TensorAccessorINS3_8ArrayRefIlEEKT1_Lm3ENS6_16DefaultPtrTraitsEiEENS_6detail16IndexBoundsCheckILm4EiEESD_Lm4ESE_iEENS8_INS9_ISB_SC_Lm3ESE_iEESI_SC_Lm4ESE_iEESJ_T2_iiiiiiiiiiiiiii
                                        ; -- End function
	.set _ZN2at6native12_GLOBAL__N_132conv_depthwise2d_backward_kernelILi5ELi0EN3c104HalfEiEEvN5torch10headeronly6detail27GenericPackedTensorAccessorINS7_14TensorAccessorINS3_8ArrayRefIlEEKT1_Lm3ENS6_16DefaultPtrTraitsEiEENS_6detail16IndexBoundsCheckILm4EiEESD_Lm4ESE_iEENS8_INS9_ISB_SC_Lm3ESE_iEESI_SC_Lm4ESE_iEESJ_T2_iiiiiiiiiiiiiii.num_vgpr, 45
	.set _ZN2at6native12_GLOBAL__N_132conv_depthwise2d_backward_kernelILi5ELi0EN3c104HalfEiEEvN5torch10headeronly6detail27GenericPackedTensorAccessorINS7_14TensorAccessorINS3_8ArrayRefIlEEKT1_Lm3ENS6_16DefaultPtrTraitsEiEENS_6detail16IndexBoundsCheckILm4EiEESD_Lm4ESE_iEENS8_INS9_ISB_SC_Lm3ESE_iEESI_SC_Lm4ESE_iEESJ_T2_iiiiiiiiiiiiiii.num_agpr, 0
	.set _ZN2at6native12_GLOBAL__N_132conv_depthwise2d_backward_kernelILi5ELi0EN3c104HalfEiEEvN5torch10headeronly6detail27GenericPackedTensorAccessorINS7_14TensorAccessorINS3_8ArrayRefIlEEKT1_Lm3ENS6_16DefaultPtrTraitsEiEENS_6detail16IndexBoundsCheckILm4EiEESD_Lm4ESE_iEENS8_INS9_ISB_SC_Lm3ESE_iEESI_SC_Lm4ESE_iEESJ_T2_iiiiiiiiiiiiiii.numbered_sgpr, 96
	.set _ZN2at6native12_GLOBAL__N_132conv_depthwise2d_backward_kernelILi5ELi0EN3c104HalfEiEEvN5torch10headeronly6detail27GenericPackedTensorAccessorINS7_14TensorAccessorINS3_8ArrayRefIlEEKT1_Lm3ENS6_16DefaultPtrTraitsEiEENS_6detail16IndexBoundsCheckILm4EiEESD_Lm4ESE_iEENS8_INS9_ISB_SC_Lm3ESE_iEESI_SC_Lm4ESE_iEESJ_T2_iiiiiiiiiiiiiii.num_named_barrier, 0
	.set _ZN2at6native12_GLOBAL__N_132conv_depthwise2d_backward_kernelILi5ELi0EN3c104HalfEiEEvN5torch10headeronly6detail27GenericPackedTensorAccessorINS7_14TensorAccessorINS3_8ArrayRefIlEEKT1_Lm3ENS6_16DefaultPtrTraitsEiEENS_6detail16IndexBoundsCheckILm4EiEESD_Lm4ESE_iEENS8_INS9_ISB_SC_Lm3ESE_iEESI_SC_Lm4ESE_iEESJ_T2_iiiiiiiiiiiiiii.private_seg_size, 0
	.set _ZN2at6native12_GLOBAL__N_132conv_depthwise2d_backward_kernelILi5ELi0EN3c104HalfEiEEvN5torch10headeronly6detail27GenericPackedTensorAccessorINS7_14TensorAccessorINS3_8ArrayRefIlEEKT1_Lm3ENS6_16DefaultPtrTraitsEiEENS_6detail16IndexBoundsCheckILm4EiEESD_Lm4ESE_iEENS8_INS9_ISB_SC_Lm3ESE_iEESI_SC_Lm4ESE_iEESJ_T2_iiiiiiiiiiiiiii.uses_vcc, 1
	.set _ZN2at6native12_GLOBAL__N_132conv_depthwise2d_backward_kernelILi5ELi0EN3c104HalfEiEEvN5torch10headeronly6detail27GenericPackedTensorAccessorINS7_14TensorAccessorINS3_8ArrayRefIlEEKT1_Lm3ENS6_16DefaultPtrTraitsEiEENS_6detail16IndexBoundsCheckILm4EiEESD_Lm4ESE_iEENS8_INS9_ISB_SC_Lm3ESE_iEESI_SC_Lm4ESE_iEESJ_T2_iiiiiiiiiiiiiii.uses_flat_scratch, 0
	.set _ZN2at6native12_GLOBAL__N_132conv_depthwise2d_backward_kernelILi5ELi0EN3c104HalfEiEEvN5torch10headeronly6detail27GenericPackedTensorAccessorINS7_14TensorAccessorINS3_8ArrayRefIlEEKT1_Lm3ENS6_16DefaultPtrTraitsEiEENS_6detail16IndexBoundsCheckILm4EiEESD_Lm4ESE_iEENS8_INS9_ISB_SC_Lm3ESE_iEESI_SC_Lm4ESE_iEESJ_T2_iiiiiiiiiiiiiii.has_dyn_sized_stack, 0
	.set _ZN2at6native12_GLOBAL__N_132conv_depthwise2d_backward_kernelILi5ELi0EN3c104HalfEiEEvN5torch10headeronly6detail27GenericPackedTensorAccessorINS7_14TensorAccessorINS3_8ArrayRefIlEEKT1_Lm3ENS6_16DefaultPtrTraitsEiEENS_6detail16IndexBoundsCheckILm4EiEESD_Lm4ESE_iEENS8_INS9_ISB_SC_Lm3ESE_iEESI_SC_Lm4ESE_iEESJ_T2_iiiiiiiiiiiiiii.has_recursion, 0
	.set _ZN2at6native12_GLOBAL__N_132conv_depthwise2d_backward_kernelILi5ELi0EN3c104HalfEiEEvN5torch10headeronly6detail27GenericPackedTensorAccessorINS7_14TensorAccessorINS3_8ArrayRefIlEEKT1_Lm3ENS6_16DefaultPtrTraitsEiEENS_6detail16IndexBoundsCheckILm4EiEESD_Lm4ESE_iEENS8_INS9_ISB_SC_Lm3ESE_iEESI_SC_Lm4ESE_iEESJ_T2_iiiiiiiiiiiiiii.has_indirect_call, 0
	.section	.AMDGPU.csdata,"",@progbits
; Kernel info:
; codeLenInByte = 7436
; TotalNumSgprs: 100
; NumVgprs: 45
; ScratchSize: 0
; MemoryBound: 0
; FloatMode: 240
; IeeeMode: 1
; LDSByteSize: 0 bytes/workgroup (compile time only)
; SGPRBlocks: 12
; VGPRBlocks: 11
; NumSGPRsForWavesPerEU: 100
; NumVGPRsForWavesPerEU: 45
; Occupancy: 5
; WaveLimiterHint : 0
; COMPUTE_PGM_RSRC2:SCRATCH_EN: 0
; COMPUTE_PGM_RSRC2:USER_SGPR: 6
; COMPUTE_PGM_RSRC2:TRAP_HANDLER: 0
; COMPUTE_PGM_RSRC2:TGID_X_EN: 1
; COMPUTE_PGM_RSRC2:TGID_Y_EN: 0
; COMPUTE_PGM_RSRC2:TGID_Z_EN: 0
; COMPUTE_PGM_RSRC2:TIDIG_COMP_CNT: 0
	.section	.text._ZN2at6native12_GLOBAL__N_132conv_depthwise2d_backward_kernelILi3ELi1EN3c104HalfEiEEvN5torch10headeronly6detail27GenericPackedTensorAccessorINS7_14TensorAccessorINS3_8ArrayRefIlEEKT1_Lm3ENS6_16DefaultPtrTraitsEiEENS_6detail16IndexBoundsCheckILm4EiEESD_Lm4ESE_iEENS8_INS9_ISB_SC_Lm3ESE_iEESI_SC_Lm4ESE_iEESJ_T2_iiiiiiiiiiiiiii,"axG",@progbits,_ZN2at6native12_GLOBAL__N_132conv_depthwise2d_backward_kernelILi3ELi1EN3c104HalfEiEEvN5torch10headeronly6detail27GenericPackedTensorAccessorINS7_14TensorAccessorINS3_8ArrayRefIlEEKT1_Lm3ENS6_16DefaultPtrTraitsEiEENS_6detail16IndexBoundsCheckILm4EiEESD_Lm4ESE_iEENS8_INS9_ISB_SC_Lm3ESE_iEESI_SC_Lm4ESE_iEESJ_T2_iiiiiiiiiiiiiii,comdat
	.globl	_ZN2at6native12_GLOBAL__N_132conv_depthwise2d_backward_kernelILi3ELi1EN3c104HalfEiEEvN5torch10headeronly6detail27GenericPackedTensorAccessorINS7_14TensorAccessorINS3_8ArrayRefIlEEKT1_Lm3ENS6_16DefaultPtrTraitsEiEENS_6detail16IndexBoundsCheckILm4EiEESD_Lm4ESE_iEENS8_INS9_ISB_SC_Lm3ESE_iEESI_SC_Lm4ESE_iEESJ_T2_iiiiiiiiiiiiiii ; -- Begin function _ZN2at6native12_GLOBAL__N_132conv_depthwise2d_backward_kernelILi3ELi1EN3c104HalfEiEEvN5torch10headeronly6detail27GenericPackedTensorAccessorINS7_14TensorAccessorINS3_8ArrayRefIlEEKT1_Lm3ENS6_16DefaultPtrTraitsEiEENS_6detail16IndexBoundsCheckILm4EiEESD_Lm4ESE_iEENS8_INS9_ISB_SC_Lm3ESE_iEESI_SC_Lm4ESE_iEESJ_T2_iiiiiiiiiiiiiii
	.p2align	8
	.type	_ZN2at6native12_GLOBAL__N_132conv_depthwise2d_backward_kernelILi3ELi1EN3c104HalfEiEEvN5torch10headeronly6detail27GenericPackedTensorAccessorINS7_14TensorAccessorINS3_8ArrayRefIlEEKT1_Lm3ENS6_16DefaultPtrTraitsEiEENS_6detail16IndexBoundsCheckILm4EiEESD_Lm4ESE_iEENS8_INS9_ISB_SC_Lm3ESE_iEESI_SC_Lm4ESE_iEESJ_T2_iiiiiiiiiiiiiii,@function
_ZN2at6native12_GLOBAL__N_132conv_depthwise2d_backward_kernelILi3ELi1EN3c104HalfEiEEvN5torch10headeronly6detail27GenericPackedTensorAccessorINS7_14TensorAccessorINS3_8ArrayRefIlEEKT1_Lm3ENS6_16DefaultPtrTraitsEiEENS_6detail16IndexBoundsCheckILm4EiEESD_Lm4ESE_iEENS8_INS9_ISB_SC_Lm3ESE_iEESI_SC_Lm4ESE_iEESJ_T2_iiiiiiiiiiiiiii: ; @_ZN2at6native12_GLOBAL__N_132conv_depthwise2d_backward_kernelILi3ELi1EN3c104HalfEiEEvN5torch10headeronly6detail27GenericPackedTensorAccessorINS7_14TensorAccessorINS3_8ArrayRefIlEEKT1_Lm3ENS6_16DefaultPtrTraitsEiEENS_6detail16IndexBoundsCheckILm4EiEESD_Lm4ESE_iEENS8_INS9_ISB_SC_Lm3ESE_iEESI_SC_Lm4ESE_iEESJ_T2_iiiiiiiiiiiiiii
; %bb.0:
	s_load_dword s2, s[4:5], 0xc4
	s_load_dwordx8 s[8:15], s[4:5], 0x78
	s_add_u32 s0, s4, 0xb8
	s_addc_u32 s1, s5, 0
	v_mov_b32_e32 v1, 0
	s_waitcnt lgkmcnt(0)
	s_and_b32 s2, s2, 0xffff
	v_mov_b32_e32 v2, s6
	v_mad_u64_u32 v[1:2], s[16:17], s2, v2, v[0:1]
	s_ashr_i32 s21, s8, 31
	s_mov_b32 s20, s8
	v_cmp_gt_i64_e32 vcc, s[20:21], v[1:2]
	s_and_saveexec_b64 s[16:17], vcc
	s_cbranch_execz .LBB43_26
; %bb.1:
	s_cmp_gt_i32 s10, 0
	s_cselect_b64 s[30:31], -1, 0
	s_abs_i32 s8, s12
	v_cvt_f32_u32_e32 v3, s8
	s_abs_i32 s33, s13
	v_cvt_f32_u32_e32 v4, s33
	s_abs_i32 s46, s9
	v_rcp_iflag_f32_e32 v3, v3
	v_cvt_f32_u32_e32 v5, s46
	v_rcp_iflag_f32_e32 v4, v4
	s_load_dwordx2 s[28:29], s[4:5], 0x98
	s_load_dwordx2 s[22:23], s[4:5], 0x0
	s_load_dwordx2 s[24:25], s[4:5], 0x28
	s_load_dwordx2 s[26:27], s[4:5], 0x50
	s_load_dword s3, s[0:1], 0x0
	v_mul_f32_e32 v3, 0x4f7ffffe, v3
	v_rcp_iflag_f32_e32 v5, v5
	v_cvt_u32_f32_e32 v3, v3
	v_mul_f32_e32 v4, 0x4f7ffffe, v4
	s_sub_i32 s0, 0, s8
	v_cvt_u32_f32_e32 v4, v4
	v_mul_f32_e32 v5, 0x4f7ffffe, v5
	v_mul_lo_u32 v6, s0, v3
	v_cvt_u32_f32_e32 v7, v5
	s_sub_i32 s0, 0, s33
	v_mul_lo_u32 v5, s0, v4
	s_sub_i32 s0, 0, s46
	v_mul_hi_u32 v6, v3, v6
	v_mul_lo_u32 v8, s0, v7
	s_load_dwordx4 s[16:19], s[4:5], 0xa8
	v_mul_hi_u32 v9, v4, v5
	v_add_u32_e32 v5, v3, v6
	v_mul_hi_u32 v3, v7, v8
	s_mul_i32 s0, s6, s2
	s_waitcnt lgkmcnt(0)
	s_add_i32 s0, s0, s16
	v_add_u32_e32 v0, s0, v0
	s_lshl_b32 s0, s18, 1
	v_add_u32_e32 v7, v7, v3
	s_mul_i32 s51, s29, s28
	v_subrev_u32_e32 v8, s0, v0
	s_lshl_b32 s0, s19, 1
	v_cndmask_b32_e64 v3, 0, 1, s[30:31]
	s_mul_i32 s47, s3, s2
	s_ashr_i32 s48, s12, 31
	s_ashr_i32 s49, s13, 31
	v_add_u32_e32 v6, v4, v9
	s_ashr_i32 s50, s9, 31
	s_mul_i32 s52, s51, s10
	s_sub_i32 s53, 0, s12
	s_sub_i32 s54, s17, s0
	s_mul_i32 s55, s15, s14
	v_subrev_u32_e32 v9, s18, v0
	s_sub_i32 s56, s17, s19
	s_mov_b64 s[28:29], 0
	v_cmp_ne_u32_e64 s[0:1], 1, v3
	s_branch .LBB43_4
.LBB43_2:                               ;   in Loop: Header=BB43_4 Depth=1
	v_cvt_f16_f32_e32 v3, v20
.LBB43_3:                               ;   in Loop: Header=BB43_4 Depth=1
	v_lshlrev_b64 v[10:11], 1, v[1:2]
	v_mov_b32_e32 v4, s25
	v_add_co_u32_e32 v10, vcc, s24, v10
	v_addc_co_u32_e32 v11, vcc, v4, v11, vcc
	v_add_co_u32_e32 v1, vcc, s47, v1
	v_addc_co_u32_e32 v2, vcc, 0, v2, vcc
	v_cmp_le_i64_e32 vcc, s[20:21], v[1:2]
	v_add_u32_e32 v8, s47, v8
	v_add_u32_e32 v9, s47, v9
	s_or_b64 s[28:29], vcc, s[28:29]
	v_add_u32_e32 v0, s47, v0
	global_store_short v[10:11], v3, off
	s_andn2_b64 exec, exec, s[28:29]
	s_cbranch_execz .LBB43_26
.LBB43_4:                               ; =>This Loop Header: Depth=1
                                        ;     Child Loop BB43_7 Depth 2
	s_and_b64 vcc, exec, s[0:1]
	s_cbranch_vccnz .LBB43_25
; %bb.5:                                ;   in Loop: Header=BB43_4 Depth=1
	v_sub_u32_e32 v3, 0, v1
	v_max_i32_e32 v3, v1, v3
	v_mul_hi_u32 v10, v3, v5
	v_ashrrev_i32_e32 v4, 31, v1
	v_xor_b32_e32 v4, s48, v4
	v_add_u32_e32 v17, s16, v1
	v_mul_lo_u32 v11, v10, s8
	v_add_u32_e32 v12, 1, v10
	s_mov_b32 s57, s10
	v_mov_b32_e32 v20, 0
	v_sub_u32_e32 v3, v3, v11
	v_cmp_le_u32_e32 vcc, s8, v3
	v_subrev_u32_e32 v11, s8, v3
	v_cndmask_b32_e32 v10, v10, v12, vcc
	v_cndmask_b32_e32 v3, v3, v11, vcc
	v_add_u32_e32 v11, 1, v10
	v_cmp_le_u32_e32 vcc, s8, v3
	v_cndmask_b32_e32 v3, v10, v11, vcc
	v_xor_b32_e32 v14, v3, v4
	v_sub_u32_e32 v12, v14, v4
	v_sub_u32_e32 v3, 0, v12
	v_max_i32_e32 v3, v12, v3
	v_mul_hi_u32 v10, v3, v6
	v_ashrrev_i32_e32 v13, 31, v12
	v_xor_b32_e32 v13, s49, v13
	v_mul_lo_u32 v11, v10, s33
	v_add_u32_e32 v15, 1, v10
	v_sub_u32_e32 v3, v3, v11
	v_cmp_le_u32_e32 vcc, s33, v3
	v_subrev_u32_e32 v11, s33, v3
	v_cndmask_b32_e32 v10, v10, v15, vcc
	v_cndmask_b32_e32 v3, v3, v11, vcc
	v_add_u32_e32 v11, 1, v10
	v_cmp_le_u32_e32 vcc, s33, v3
	v_cndmask_b32_e32 v3, v10, v11, vcc
	v_xor_b32_e32 v3, v3, v13
	v_sub_u32_e32 v3, v3, v13
	v_sub_u32_e32 v10, 0, v3
	v_max_i32_e32 v10, v3, v10
	v_mul_hi_u32 v11, v10, v7
	v_ashrrev_i32_e32 v15, 31, v3
	v_xor_b32_e32 v15, s50, v15
	v_mul_lo_u32 v13, v11, s46
	v_add_u32_e32 v16, 1, v11
	v_sub_u32_e32 v10, v10, v13
	v_cmp_le_u32_e32 vcc, s46, v10
	v_subrev_u32_e32 v13, s46, v10
	v_cndmask_b32_e32 v11, v11, v16, vcc
	v_cndmask_b32_e32 v10, v10, v13, vcc
	v_add_u32_e32 v13, 1, v11
	v_cmp_le_u32_e32 vcc, s46, v10
	v_cndmask_b32_e32 v10, v11, v13, vcc
	v_xor_b32_e32 v10, v10, v15
	v_sub_u32_e32 v10, v10, v15
	v_mul_lo_u32 v11, v10, s9
	v_mul_lo_u32 v15, v3, s13
	;; [unrolled: 1-line block ×3, first 2 shown]
	v_sub_u32_e32 v13, v3, v11
	v_add_u32_e32 v11, s17, v12
	v_mul_lo_u32 v3, v10, s11
	v_sub_u32_e32 v10, v11, v15
	v_cmp_gt_i32_e32 vcc, 0, v10
	v_cmp_gt_i32_e64 s[2:3], s15, v10
	v_sub_u32_e32 v10, v17, v16
	v_cmp_lt_i32_e64 s[4:5], -1, v10
	v_cmp_gt_i32_e64 s[6:7], s14, v10
	v_add_u32_e32 v10, s18, v16
	v_sub_u32_e32 v16, v17, v10
	v_add_u32_e32 v10, s18, v10
	s_and_b64 s[30:31], s[4:5], s[6:7]
	v_cmp_lt_i32_e64 s[4:5], -1, v16
	v_cmp_gt_i32_e64 s[6:7], s14, v16
	v_sub_u32_e32 v10, v17, v10
	s_and_b64 s[36:37], s[4:5], s[6:7]
	v_cmp_lt_i32_e64 s[4:5], -1, v10
	v_cmp_gt_i32_e64 s[6:7], s14, v10
	v_add_u32_e32 v10, s19, v15
	v_sub_u32_e32 v16, v11, v10
	v_add_u32_e32 v10, s19, v10
	s_and_b64 s[40:41], s[4:5], s[6:7]
	v_sub_u32_e32 v10, v11, v10
	s_and_b64 s[34:35], s[2:3], s[30:31]
	s_and_b64 s[42:43], s[2:3], s[40:41]
	v_cmp_gt_i32_e64 s[4:5], s15, v16
	v_cmp_gt_i32_e64 s[6:7], s15, v10
	s_and_b64 s[44:45], s[4:5], s[30:31]
	s_and_b64 s[58:59], s[4:5], s[36:37]
	;; [unrolled: 1-line block ×3, first 2 shown]
	v_cmp_gt_i32_e64 s[4:5], 0, v10
	s_and_b64 s[62:63], s[6:7], s[30:31]
	s_and_b64 s[64:65], s[6:7], s[36:37]
	;; [unrolled: 1-line block ×3, first 2 shown]
	s_xor_b64 s[6:7], s[34:35], -1
	s_xor_b64 s[34:35], s[42:43], -1
	v_mad_u64_u32 v[10:11], s[42:43], v13, s10, v[3:4]
	s_and_b64 s[38:39], s[2:3], s[36:37]
	v_cmp_gt_i32_e64 s[2:3], 0, v16
	v_mul_lo_u32 v16, s15, v10
	v_mul_lo_u32 v10, s53, v12
	s_xor_b64 s[30:31], s[38:39], -1
	s_xor_b64 s[36:37], s[44:45], -1
	v_add3_u32 v3, s54, v14, v16
	v_sub_u32_e32 v3, v3, v15
	v_sub_u32_e32 v3, v3, v4
	v_mul_lo_u32 v17, s14, v3
	v_mul_lo_u32 v3, s52, v13
	s_xor_b64 s[38:39], s[58:59], -1
	s_xor_b64 s[40:41], s[60:61], -1
	v_add_u32_e32 v11, v8, v17
	v_add_u32_e32 v12, v9, v17
	;; [unrolled: 1-line block ×3, first 2 shown]
	v_add3_u32 v17, s56, v14, v16
	v_add3_u32 v14, s17, v14, v16
	v_sub_u32_e32 v17, v17, v15
	v_sub_u32_e32 v14, v14, v15
	;; [unrolled: 1-line block ×4, first 2 shown]
	v_mul_lo_u32 v17, s14, v17
	v_mul_lo_u32 v4, s14, v4
	s_nor_b64 s[36:37], s[2:3], s[36:37]
	s_nor_b64 s[38:39], s[2:3], s[38:39]
	;; [unrolled: 1-line block ×3, first 2 shown]
	s_xor_b64 s[40:41], s[62:63], -1
	s_xor_b64 s[42:43], s[64:65], -1
	;; [unrolled: 1-line block ×3, first 2 shown]
	s_nor_b64 s[6:7], vcc, s[6:7]
	s_nor_b64 s[30:31], vcc, s[30:31]
	;; [unrolled: 1-line block ×3, first 2 shown]
	s_nor_b64 s[40:41], s[4:5], s[40:41]
	s_nor_b64 s[42:43], s[4:5], s[42:43]
	;; [unrolled: 1-line block ×3, first 2 shown]
	v_add_u32_e32 v14, v8, v17
	v_add_u32_e32 v15, v9, v17
	;; [unrolled: 1-line block ×6, first 2 shown]
	s_branch .LBB43_7
.LBB43_6:                               ;   in Loop: Header=BB43_7 Depth=2
	s_or_b64 exec, exec, s[44:45]
	s_add_i32 s57, s57, -1
	v_add_u32_e32 v3, s51, v3
	v_add_u32_e32 v11, s55, v11
	;; [unrolled: 1-line block ×9, first 2 shown]
	s_cmp_eq_u32 s57, 0
	v_add_u32_e32 v19, s55, v19
	s_cbranch_scc1 .LBB43_2
.LBB43_7:                               ;   Parent Loop BB43_4 Depth=1
                                        ; =>  This Inner Loop Header: Depth=2
	v_ashrrev_i32_e32 v4, 31, v3
	s_and_saveexec_b64 s[44:45], s[6:7]
	s_cbranch_execnz .LBB43_16
; %bb.8:                                ;   in Loop: Header=BB43_7 Depth=2
	s_or_b64 exec, exec, s[44:45]
	s_and_saveexec_b64 s[44:45], s[30:31]
	s_cbranch_execnz .LBB43_17
.LBB43_9:                               ;   in Loop: Header=BB43_7 Depth=2
	s_or_b64 exec, exec, s[44:45]
	s_and_saveexec_b64 s[44:45], s[34:35]
	s_cbranch_execnz .LBB43_18
.LBB43_10:                              ;   in Loop: Header=BB43_7 Depth=2
	s_or_b64 exec, exec, s[44:45]
	s_and_saveexec_b64 s[44:45], s[36:37]
	s_cbranch_execnz .LBB43_19
.LBB43_11:                              ;   in Loop: Header=BB43_7 Depth=2
	s_or_b64 exec, exec, s[44:45]
	s_and_saveexec_b64 s[44:45], s[38:39]
	s_cbranch_execnz .LBB43_20
.LBB43_12:                              ;   in Loop: Header=BB43_7 Depth=2
	s_or_b64 exec, exec, s[44:45]
	s_and_saveexec_b64 s[44:45], s[2:3]
	s_cbranch_execnz .LBB43_21
.LBB43_13:                              ;   in Loop: Header=BB43_7 Depth=2
	s_or_b64 exec, exec, s[44:45]
	s_and_saveexec_b64 s[44:45], s[40:41]
	s_cbranch_execnz .LBB43_22
.LBB43_14:                              ;   in Loop: Header=BB43_7 Depth=2
	s_or_b64 exec, exec, s[44:45]
	s_and_saveexec_b64 s[44:45], s[42:43]
	s_cbranch_execnz .LBB43_23
.LBB43_15:                              ;   in Loop: Header=BB43_7 Depth=2
	s_or_b64 exec, exec, s[44:45]
	s_and_saveexec_b64 s[44:45], s[4:5]
	s_cbranch_execz .LBB43_6
	s_branch .LBB43_24
.LBB43_16:                              ;   in Loop: Header=BB43_7 Depth=2
	v_lshlrev_b64 v[22:23], 1, v[3:4]
	v_mov_b32_e32 v24, s27
	v_add_co_u32_e32 v22, vcc, s26, v22
	v_add_u32_e32 v21, v10, v19
	v_addc_co_u32_e32 v23, vcc, v24, v23, vcc
	global_load_ushort v23, v[22:23], off
	v_ashrrev_i32_e32 v22, 31, v21
	v_lshlrev_b64 v[21:22], 1, v[21:22]
	v_mov_b32_e32 v24, s23
	v_add_co_u32_e32 v21, vcc, s22, v21
	v_addc_co_u32_e32 v22, vcc, v24, v22, vcc
	global_load_ushort v21, v[21:22], off
	s_waitcnt vmcnt(0)
	v_fma_mix_f32 v20, v23, v21, v20 op_sel_hi:[1,1,0]
	s_or_b64 exec, exec, s[44:45]
	s_and_saveexec_b64 s[44:45], s[30:31]
	s_cbranch_execz .LBB43_9
.LBB43_17:                              ;   in Loop: Header=BB43_7 Depth=2
	v_lshlrev_b64 v[22:23], 1, v[3:4]
	v_mov_b32_e32 v24, s27
	v_add_co_u32_e32 v22, vcc, s26, v22
	v_add_u32_e32 v21, v10, v18
	v_addc_co_u32_e32 v23, vcc, v24, v23, vcc
	global_load_ushort v23, v[22:23], off offset:2
	v_ashrrev_i32_e32 v22, 31, v21
	v_lshlrev_b64 v[21:22], 1, v[21:22]
	v_mov_b32_e32 v24, s23
	v_add_co_u32_e32 v21, vcc, s22, v21
	v_addc_co_u32_e32 v22, vcc, v24, v22, vcc
	global_load_ushort v21, v[21:22], off
	s_waitcnt vmcnt(0)
	v_fma_mix_f32 v20, v23, v21, v20 op_sel_hi:[1,1,0]
	s_or_b64 exec, exec, s[44:45]
	s_and_saveexec_b64 s[44:45], s[34:35]
	s_cbranch_execz .LBB43_10
.LBB43_18:                              ;   in Loop: Header=BB43_7 Depth=2
	v_lshlrev_b64 v[22:23], 1, v[3:4]
	v_mov_b32_e32 v24, s27
	v_add_co_u32_e32 v22, vcc, s26, v22
	v_add_u32_e32 v21, v10, v17
	v_addc_co_u32_e32 v23, vcc, v24, v23, vcc
	global_load_ushort v23, v[22:23], off offset:4
	v_ashrrev_i32_e32 v22, 31, v21
	v_lshlrev_b64 v[21:22], 1, v[21:22]
	v_mov_b32_e32 v24, s23
	v_add_co_u32_e32 v21, vcc, s22, v21
	v_addc_co_u32_e32 v22, vcc, v24, v22, vcc
	global_load_ushort v21, v[21:22], off
	s_waitcnt vmcnt(0)
	v_fma_mix_f32 v20, v23, v21, v20 op_sel_hi:[1,1,0]
	s_or_b64 exec, exec, s[44:45]
	s_and_saveexec_b64 s[44:45], s[36:37]
	s_cbranch_execz .LBB43_11
.LBB43_19:                              ;   in Loop: Header=BB43_7 Depth=2
	v_lshlrev_b64 v[22:23], 1, v[3:4]
	v_mov_b32_e32 v24, s27
	v_add_co_u32_e32 v22, vcc, s26, v22
	v_add_u32_e32 v21, v10, v16
	v_addc_co_u32_e32 v23, vcc, v24, v23, vcc
	global_load_ushort v23, v[22:23], off offset:6
	v_ashrrev_i32_e32 v22, 31, v21
	v_lshlrev_b64 v[21:22], 1, v[21:22]
	v_mov_b32_e32 v24, s23
	v_add_co_u32_e32 v21, vcc, s22, v21
	v_addc_co_u32_e32 v22, vcc, v24, v22, vcc
	global_load_ushort v21, v[21:22], off
	s_waitcnt vmcnt(0)
	v_fma_mix_f32 v20, v23, v21, v20 op_sel_hi:[1,1,0]
	s_or_b64 exec, exec, s[44:45]
	s_and_saveexec_b64 s[44:45], s[38:39]
	s_cbranch_execz .LBB43_12
.LBB43_20:                              ;   in Loop: Header=BB43_7 Depth=2
	v_lshlrev_b64 v[22:23], 1, v[3:4]
	v_mov_b32_e32 v24, s27
	v_add_co_u32_e32 v22, vcc, s26, v22
	v_add_u32_e32 v21, v10, v15
	v_addc_co_u32_e32 v23, vcc, v24, v23, vcc
	global_load_ushort v23, v[22:23], off offset:8
	v_ashrrev_i32_e32 v22, 31, v21
	v_lshlrev_b64 v[21:22], 1, v[21:22]
	v_mov_b32_e32 v24, s23
	v_add_co_u32_e32 v21, vcc, s22, v21
	v_addc_co_u32_e32 v22, vcc, v24, v22, vcc
	global_load_ushort v21, v[21:22], off
	s_waitcnt vmcnt(0)
	v_fma_mix_f32 v20, v23, v21, v20 op_sel_hi:[1,1,0]
	s_or_b64 exec, exec, s[44:45]
	s_and_saveexec_b64 s[44:45], s[2:3]
	s_cbranch_execz .LBB43_13
.LBB43_21:                              ;   in Loop: Header=BB43_7 Depth=2
	v_lshlrev_b64 v[22:23], 1, v[3:4]
	v_mov_b32_e32 v24, s27
	v_add_co_u32_e32 v22, vcc, s26, v22
	v_add_u32_e32 v21, v10, v14
	v_addc_co_u32_e32 v23, vcc, v24, v23, vcc
	global_load_ushort v23, v[22:23], off offset:10
	v_ashrrev_i32_e32 v22, 31, v21
	v_lshlrev_b64 v[21:22], 1, v[21:22]
	v_mov_b32_e32 v24, s23
	v_add_co_u32_e32 v21, vcc, s22, v21
	v_addc_co_u32_e32 v22, vcc, v24, v22, vcc
	global_load_ushort v21, v[21:22], off
	s_waitcnt vmcnt(0)
	v_fma_mix_f32 v20, v23, v21, v20 op_sel_hi:[1,1,0]
	s_or_b64 exec, exec, s[44:45]
	s_and_saveexec_b64 s[44:45], s[40:41]
	s_cbranch_execz .LBB43_14
.LBB43_22:                              ;   in Loop: Header=BB43_7 Depth=2
	v_lshlrev_b64 v[22:23], 1, v[3:4]
	v_mov_b32_e32 v24, s27
	v_add_co_u32_e32 v22, vcc, s26, v22
	v_add_u32_e32 v21, v10, v13
	v_addc_co_u32_e32 v23, vcc, v24, v23, vcc
	global_load_ushort v23, v[22:23], off offset:12
	v_ashrrev_i32_e32 v22, 31, v21
	v_lshlrev_b64 v[21:22], 1, v[21:22]
	v_mov_b32_e32 v24, s23
	v_add_co_u32_e32 v21, vcc, s22, v21
	v_addc_co_u32_e32 v22, vcc, v24, v22, vcc
	global_load_ushort v21, v[21:22], off
	s_waitcnt vmcnt(0)
	v_fma_mix_f32 v20, v23, v21, v20 op_sel_hi:[1,1,0]
	s_or_b64 exec, exec, s[44:45]
	s_and_saveexec_b64 s[44:45], s[42:43]
	s_cbranch_execz .LBB43_15
.LBB43_23:                              ;   in Loop: Header=BB43_7 Depth=2
	v_lshlrev_b64 v[22:23], 1, v[3:4]
	v_mov_b32_e32 v24, s27
	v_add_co_u32_e32 v22, vcc, s26, v22
	v_add_u32_e32 v21, v10, v12
	v_addc_co_u32_e32 v23, vcc, v24, v23, vcc
	global_load_ushort v23, v[22:23], off offset:14
	v_ashrrev_i32_e32 v22, 31, v21
	v_lshlrev_b64 v[21:22], 1, v[21:22]
	v_mov_b32_e32 v24, s23
	v_add_co_u32_e32 v21, vcc, s22, v21
	v_addc_co_u32_e32 v22, vcc, v24, v22, vcc
	global_load_ushort v21, v[21:22], off
	s_waitcnt vmcnt(0)
	v_fma_mix_f32 v20, v23, v21, v20 op_sel_hi:[1,1,0]
	s_or_b64 exec, exec, s[44:45]
	s_and_saveexec_b64 s[44:45], s[4:5]
	s_cbranch_execz .LBB43_6
.LBB43_24:                              ;   in Loop: Header=BB43_7 Depth=2
	v_lshlrev_b64 v[22:23], 1, v[3:4]
	v_mov_b32_e32 v4, s27
	v_add_co_u32_e32 v22, vcc, s26, v22
	v_add_u32_e32 v21, v10, v11
	v_addc_co_u32_e32 v23, vcc, v4, v23, vcc
	global_load_ushort v4, v[22:23], off offset:16
	v_ashrrev_i32_e32 v22, 31, v21
	v_lshlrev_b64 v[21:22], 1, v[21:22]
	v_mov_b32_e32 v23, s23
	v_add_co_u32_e32 v21, vcc, s22, v21
	v_addc_co_u32_e32 v22, vcc, v23, v22, vcc
	global_load_ushort v21, v[21:22], off
	s_waitcnt vmcnt(0)
	v_fma_mix_f32 v20, v4, v21, v20 op_sel_hi:[1,1,0]
	s_branch .LBB43_6
.LBB43_25:                              ;   in Loop: Header=BB43_4 Depth=1
	v_mov_b32_e32 v3, 0
	s_branch .LBB43_3
.LBB43_26:
	s_endpgm
	.section	.rodata,"a",@progbits
	.p2align	6, 0x0
	.amdhsa_kernel _ZN2at6native12_GLOBAL__N_132conv_depthwise2d_backward_kernelILi3ELi1EN3c104HalfEiEEvN5torch10headeronly6detail27GenericPackedTensorAccessorINS7_14TensorAccessorINS3_8ArrayRefIlEEKT1_Lm3ENS6_16DefaultPtrTraitsEiEENS_6detail16IndexBoundsCheckILm4EiEESD_Lm4ESE_iEENS8_INS9_ISB_SC_Lm3ESE_iEESI_SC_Lm4ESE_iEESJ_T2_iiiiiiiiiiiiiii
		.amdhsa_group_segment_fixed_size 0
		.amdhsa_private_segment_fixed_size 0
		.amdhsa_kernarg_size 440
		.amdhsa_user_sgpr_count 6
		.amdhsa_user_sgpr_private_segment_buffer 1
		.amdhsa_user_sgpr_dispatch_ptr 0
		.amdhsa_user_sgpr_queue_ptr 0
		.amdhsa_user_sgpr_kernarg_segment_ptr 1
		.amdhsa_user_sgpr_dispatch_id 0
		.amdhsa_user_sgpr_flat_scratch_init 0
		.amdhsa_user_sgpr_private_segment_size 0
		.amdhsa_uses_dynamic_stack 0
		.amdhsa_system_sgpr_private_segment_wavefront_offset 0
		.amdhsa_system_sgpr_workgroup_id_x 1
		.amdhsa_system_sgpr_workgroup_id_y 0
		.amdhsa_system_sgpr_workgroup_id_z 0
		.amdhsa_system_sgpr_workgroup_info 0
		.amdhsa_system_vgpr_workitem_id 0
		.amdhsa_next_free_vgpr 25
		.amdhsa_next_free_sgpr 68
		.amdhsa_reserve_vcc 1
		.amdhsa_reserve_flat_scratch 0
		.amdhsa_float_round_mode_32 0
		.amdhsa_float_round_mode_16_64 0
		.amdhsa_float_denorm_mode_32 3
		.amdhsa_float_denorm_mode_16_64 3
		.amdhsa_dx10_clamp 1
		.amdhsa_ieee_mode 1
		.amdhsa_fp16_overflow 0
		.amdhsa_exception_fp_ieee_invalid_op 0
		.amdhsa_exception_fp_denorm_src 0
		.amdhsa_exception_fp_ieee_div_zero 0
		.amdhsa_exception_fp_ieee_overflow 0
		.amdhsa_exception_fp_ieee_underflow 0
		.amdhsa_exception_fp_ieee_inexact 0
		.amdhsa_exception_int_div_zero 0
	.end_amdhsa_kernel
	.section	.text._ZN2at6native12_GLOBAL__N_132conv_depthwise2d_backward_kernelILi3ELi1EN3c104HalfEiEEvN5torch10headeronly6detail27GenericPackedTensorAccessorINS7_14TensorAccessorINS3_8ArrayRefIlEEKT1_Lm3ENS6_16DefaultPtrTraitsEiEENS_6detail16IndexBoundsCheckILm4EiEESD_Lm4ESE_iEENS8_INS9_ISB_SC_Lm3ESE_iEESI_SC_Lm4ESE_iEESJ_T2_iiiiiiiiiiiiiii,"axG",@progbits,_ZN2at6native12_GLOBAL__N_132conv_depthwise2d_backward_kernelILi3ELi1EN3c104HalfEiEEvN5torch10headeronly6detail27GenericPackedTensorAccessorINS7_14TensorAccessorINS3_8ArrayRefIlEEKT1_Lm3ENS6_16DefaultPtrTraitsEiEENS_6detail16IndexBoundsCheckILm4EiEESD_Lm4ESE_iEENS8_INS9_ISB_SC_Lm3ESE_iEESI_SC_Lm4ESE_iEESJ_T2_iiiiiiiiiiiiiii,comdat
.Lfunc_end43:
	.size	_ZN2at6native12_GLOBAL__N_132conv_depthwise2d_backward_kernelILi3ELi1EN3c104HalfEiEEvN5torch10headeronly6detail27GenericPackedTensorAccessorINS7_14TensorAccessorINS3_8ArrayRefIlEEKT1_Lm3ENS6_16DefaultPtrTraitsEiEENS_6detail16IndexBoundsCheckILm4EiEESD_Lm4ESE_iEENS8_INS9_ISB_SC_Lm3ESE_iEESI_SC_Lm4ESE_iEESJ_T2_iiiiiiiiiiiiiii, .Lfunc_end43-_ZN2at6native12_GLOBAL__N_132conv_depthwise2d_backward_kernelILi3ELi1EN3c104HalfEiEEvN5torch10headeronly6detail27GenericPackedTensorAccessorINS7_14TensorAccessorINS3_8ArrayRefIlEEKT1_Lm3ENS6_16DefaultPtrTraitsEiEENS_6detail16IndexBoundsCheckILm4EiEESD_Lm4ESE_iEENS8_INS9_ISB_SC_Lm3ESE_iEESI_SC_Lm4ESE_iEESJ_T2_iiiiiiiiiiiiiii
                                        ; -- End function
	.set _ZN2at6native12_GLOBAL__N_132conv_depthwise2d_backward_kernelILi3ELi1EN3c104HalfEiEEvN5torch10headeronly6detail27GenericPackedTensorAccessorINS7_14TensorAccessorINS3_8ArrayRefIlEEKT1_Lm3ENS6_16DefaultPtrTraitsEiEENS_6detail16IndexBoundsCheckILm4EiEESD_Lm4ESE_iEENS8_INS9_ISB_SC_Lm3ESE_iEESI_SC_Lm4ESE_iEESJ_T2_iiiiiiiiiiiiiii.num_vgpr, 25
	.set _ZN2at6native12_GLOBAL__N_132conv_depthwise2d_backward_kernelILi3ELi1EN3c104HalfEiEEvN5torch10headeronly6detail27GenericPackedTensorAccessorINS7_14TensorAccessorINS3_8ArrayRefIlEEKT1_Lm3ENS6_16DefaultPtrTraitsEiEENS_6detail16IndexBoundsCheckILm4EiEESD_Lm4ESE_iEENS8_INS9_ISB_SC_Lm3ESE_iEESI_SC_Lm4ESE_iEESJ_T2_iiiiiiiiiiiiiii.num_agpr, 0
	.set _ZN2at6native12_GLOBAL__N_132conv_depthwise2d_backward_kernelILi3ELi1EN3c104HalfEiEEvN5torch10headeronly6detail27GenericPackedTensorAccessorINS7_14TensorAccessorINS3_8ArrayRefIlEEKT1_Lm3ENS6_16DefaultPtrTraitsEiEENS_6detail16IndexBoundsCheckILm4EiEESD_Lm4ESE_iEENS8_INS9_ISB_SC_Lm3ESE_iEESI_SC_Lm4ESE_iEESJ_T2_iiiiiiiiiiiiiii.numbered_sgpr, 68
	.set _ZN2at6native12_GLOBAL__N_132conv_depthwise2d_backward_kernelILi3ELi1EN3c104HalfEiEEvN5torch10headeronly6detail27GenericPackedTensorAccessorINS7_14TensorAccessorINS3_8ArrayRefIlEEKT1_Lm3ENS6_16DefaultPtrTraitsEiEENS_6detail16IndexBoundsCheckILm4EiEESD_Lm4ESE_iEENS8_INS9_ISB_SC_Lm3ESE_iEESI_SC_Lm4ESE_iEESJ_T2_iiiiiiiiiiiiiii.num_named_barrier, 0
	.set _ZN2at6native12_GLOBAL__N_132conv_depthwise2d_backward_kernelILi3ELi1EN3c104HalfEiEEvN5torch10headeronly6detail27GenericPackedTensorAccessorINS7_14TensorAccessorINS3_8ArrayRefIlEEKT1_Lm3ENS6_16DefaultPtrTraitsEiEENS_6detail16IndexBoundsCheckILm4EiEESD_Lm4ESE_iEENS8_INS9_ISB_SC_Lm3ESE_iEESI_SC_Lm4ESE_iEESJ_T2_iiiiiiiiiiiiiii.private_seg_size, 0
	.set _ZN2at6native12_GLOBAL__N_132conv_depthwise2d_backward_kernelILi3ELi1EN3c104HalfEiEEvN5torch10headeronly6detail27GenericPackedTensorAccessorINS7_14TensorAccessorINS3_8ArrayRefIlEEKT1_Lm3ENS6_16DefaultPtrTraitsEiEENS_6detail16IndexBoundsCheckILm4EiEESD_Lm4ESE_iEENS8_INS9_ISB_SC_Lm3ESE_iEESI_SC_Lm4ESE_iEESJ_T2_iiiiiiiiiiiiiii.uses_vcc, 1
	.set _ZN2at6native12_GLOBAL__N_132conv_depthwise2d_backward_kernelILi3ELi1EN3c104HalfEiEEvN5torch10headeronly6detail27GenericPackedTensorAccessorINS7_14TensorAccessorINS3_8ArrayRefIlEEKT1_Lm3ENS6_16DefaultPtrTraitsEiEENS_6detail16IndexBoundsCheckILm4EiEESD_Lm4ESE_iEENS8_INS9_ISB_SC_Lm3ESE_iEESI_SC_Lm4ESE_iEESJ_T2_iiiiiiiiiiiiiii.uses_flat_scratch, 0
	.set _ZN2at6native12_GLOBAL__N_132conv_depthwise2d_backward_kernelILi3ELi1EN3c104HalfEiEEvN5torch10headeronly6detail27GenericPackedTensorAccessorINS7_14TensorAccessorINS3_8ArrayRefIlEEKT1_Lm3ENS6_16DefaultPtrTraitsEiEENS_6detail16IndexBoundsCheckILm4EiEESD_Lm4ESE_iEENS8_INS9_ISB_SC_Lm3ESE_iEESI_SC_Lm4ESE_iEESJ_T2_iiiiiiiiiiiiiii.has_dyn_sized_stack, 0
	.set _ZN2at6native12_GLOBAL__N_132conv_depthwise2d_backward_kernelILi3ELi1EN3c104HalfEiEEvN5torch10headeronly6detail27GenericPackedTensorAccessorINS7_14TensorAccessorINS3_8ArrayRefIlEEKT1_Lm3ENS6_16DefaultPtrTraitsEiEENS_6detail16IndexBoundsCheckILm4EiEESD_Lm4ESE_iEENS8_INS9_ISB_SC_Lm3ESE_iEESI_SC_Lm4ESE_iEESJ_T2_iiiiiiiiiiiiiii.has_recursion, 0
	.set _ZN2at6native12_GLOBAL__N_132conv_depthwise2d_backward_kernelILi3ELi1EN3c104HalfEiEEvN5torch10headeronly6detail27GenericPackedTensorAccessorINS7_14TensorAccessorINS3_8ArrayRefIlEEKT1_Lm3ENS6_16DefaultPtrTraitsEiEENS_6detail16IndexBoundsCheckILm4EiEESD_Lm4ESE_iEENS8_INS9_ISB_SC_Lm3ESE_iEESI_SC_Lm4ESE_iEESJ_T2_iiiiiiiiiiiiiii.has_indirect_call, 0
	.section	.AMDGPU.csdata,"",@progbits
; Kernel info:
; codeLenInByte = 2088
; TotalNumSgprs: 72
; NumVgprs: 25
; ScratchSize: 0
; MemoryBound: 0
; FloatMode: 240
; IeeeMode: 1
; LDSByteSize: 0 bytes/workgroup (compile time only)
; SGPRBlocks: 8
; VGPRBlocks: 6
; NumSGPRsForWavesPerEU: 72
; NumVGPRsForWavesPerEU: 25
; Occupancy: 9
; WaveLimiterHint : 0
; COMPUTE_PGM_RSRC2:SCRATCH_EN: 0
; COMPUTE_PGM_RSRC2:USER_SGPR: 6
; COMPUTE_PGM_RSRC2:TRAP_HANDLER: 0
; COMPUTE_PGM_RSRC2:TGID_X_EN: 1
; COMPUTE_PGM_RSRC2:TGID_Y_EN: 0
; COMPUTE_PGM_RSRC2:TGID_Z_EN: 0
; COMPUTE_PGM_RSRC2:TIDIG_COMP_CNT: 0
	.section	.text._ZN2at6native12_GLOBAL__N_132conv_depthwise2d_backward_kernelILi3ELi2EN3c104HalfEiEEvN5torch10headeronly6detail27GenericPackedTensorAccessorINS7_14TensorAccessorINS3_8ArrayRefIlEEKT1_Lm3ENS6_16DefaultPtrTraitsEiEENS_6detail16IndexBoundsCheckILm4EiEESD_Lm4ESE_iEENS8_INS9_ISB_SC_Lm3ESE_iEESI_SC_Lm4ESE_iEESJ_T2_iiiiiiiiiiiiiii,"axG",@progbits,_ZN2at6native12_GLOBAL__N_132conv_depthwise2d_backward_kernelILi3ELi2EN3c104HalfEiEEvN5torch10headeronly6detail27GenericPackedTensorAccessorINS7_14TensorAccessorINS3_8ArrayRefIlEEKT1_Lm3ENS6_16DefaultPtrTraitsEiEENS_6detail16IndexBoundsCheckILm4EiEESD_Lm4ESE_iEENS8_INS9_ISB_SC_Lm3ESE_iEESI_SC_Lm4ESE_iEESJ_T2_iiiiiiiiiiiiiii,comdat
	.globl	_ZN2at6native12_GLOBAL__N_132conv_depthwise2d_backward_kernelILi3ELi2EN3c104HalfEiEEvN5torch10headeronly6detail27GenericPackedTensorAccessorINS7_14TensorAccessorINS3_8ArrayRefIlEEKT1_Lm3ENS6_16DefaultPtrTraitsEiEENS_6detail16IndexBoundsCheckILm4EiEESD_Lm4ESE_iEENS8_INS9_ISB_SC_Lm3ESE_iEESI_SC_Lm4ESE_iEESJ_T2_iiiiiiiiiiiiiii ; -- Begin function _ZN2at6native12_GLOBAL__N_132conv_depthwise2d_backward_kernelILi3ELi2EN3c104HalfEiEEvN5torch10headeronly6detail27GenericPackedTensorAccessorINS7_14TensorAccessorINS3_8ArrayRefIlEEKT1_Lm3ENS6_16DefaultPtrTraitsEiEENS_6detail16IndexBoundsCheckILm4EiEESD_Lm4ESE_iEENS8_INS9_ISB_SC_Lm3ESE_iEESI_SC_Lm4ESE_iEESJ_T2_iiiiiiiiiiiiiii
	.p2align	8
	.type	_ZN2at6native12_GLOBAL__N_132conv_depthwise2d_backward_kernelILi3ELi2EN3c104HalfEiEEvN5torch10headeronly6detail27GenericPackedTensorAccessorINS7_14TensorAccessorINS3_8ArrayRefIlEEKT1_Lm3ENS6_16DefaultPtrTraitsEiEENS_6detail16IndexBoundsCheckILm4EiEESD_Lm4ESE_iEENS8_INS9_ISB_SC_Lm3ESE_iEESI_SC_Lm4ESE_iEESJ_T2_iiiiiiiiiiiiiii,@function
_ZN2at6native12_GLOBAL__N_132conv_depthwise2d_backward_kernelILi3ELi2EN3c104HalfEiEEvN5torch10headeronly6detail27GenericPackedTensorAccessorINS7_14TensorAccessorINS3_8ArrayRefIlEEKT1_Lm3ENS6_16DefaultPtrTraitsEiEENS_6detail16IndexBoundsCheckILm4EiEESD_Lm4ESE_iEENS8_INS9_ISB_SC_Lm3ESE_iEESI_SC_Lm4ESE_iEESJ_T2_iiiiiiiiiiiiiii: ; @_ZN2at6native12_GLOBAL__N_132conv_depthwise2d_backward_kernelILi3ELi2EN3c104HalfEiEEvN5torch10headeronly6detail27GenericPackedTensorAccessorINS7_14TensorAccessorINS3_8ArrayRefIlEEKT1_Lm3ENS6_16DefaultPtrTraitsEiEENS_6detail16IndexBoundsCheckILm4EiEESD_Lm4ESE_iEENS8_INS9_ISB_SC_Lm3ESE_iEESI_SC_Lm4ESE_iEESJ_T2_iiiiiiiiiiiiiii
; %bb.0:
	s_load_dword s2, s[4:5], 0xc4
	s_load_dwordx8 s[24:31], s[4:5], 0x78
	s_add_u32 s0, s4, 0xb8
	s_addc_u32 s1, s5, 0
	v_mov_b32_e32 v1, 0
	s_waitcnt lgkmcnt(0)
	s_and_b32 s2, s2, 0xffff
	v_mov_b32_e32 v2, s6
	v_mad_u64_u32 v[0:1], s[6:7], s2, v2, v[0:1]
	s_ashr_i32 s23, s24, 31
	s_mov_b32 s22, s24
	v_cmp_gt_i64_e32 vcc, s[22:23], v[0:1]
	s_and_saveexec_b64 s[6:7], vcc
	s_cbranch_execz .LBB44_26
; %bb.1:
	s_cmp_gt_i32 s26, 0
	s_cselect_b64 s[6:7], -1, 0
	s_abs_i32 s24, s28
	v_cvt_f32_u32_e32 v2, s24
	s_abs_i32 s33, s29
	v_cvt_f32_u32_e32 v3, s33
	s_abs_i32 s48, s25
	v_rcp_iflag_f32_e32 v2, v2
	v_cvt_f32_u32_e32 v4, s48
	v_rcp_iflag_f32_e32 v3, v3
	s_load_dwordx2 s[8:9], s[4:5], 0x98
	s_load_dwordx2 s[34:35], s[4:5], 0x0
	;; [unrolled: 1-line block ×4, first 2 shown]
	s_load_dword s3, s[0:1], 0x0
	v_mul_f32_e32 v2, 0x4f7ffffe, v2
	v_rcp_iflag_f32_e32 v4, v4
	v_cvt_u32_f32_e32 v2, v2
	v_mul_f32_e32 v3, 0x4f7ffffe, v3
	s_sub_i32 s0, 0, s24
	v_cvt_u32_f32_e32 v3, v3
	v_mul_f32_e32 v4, 0x4f7ffffe, v4
	v_mul_lo_u32 v5, s0, v2
	v_cvt_u32_f32_e32 v6, v4
	s_sub_i32 s0, 0, s33
	v_mul_lo_u32 v4, s0, v3
	s_sub_i32 s0, 0, s48
	v_mul_hi_u32 v5, v2, v5
	v_mul_lo_u32 v7, s0, v6
	v_mul_hi_u32 v8, v3, v4
	s_load_dwordx4 s[36:39], s[4:5], 0xa8
	v_add_u32_e32 v4, v2, v5
	v_mul_hi_u32 v2, v6, v7
	s_waitcnt lgkmcnt(0)
	s_mul_i32 s53, s9, s8
	s_mul_i32 s49, s3, s2
	s_ashr_i32 s50, s28, 31
	v_add_u32_e32 v6, v6, v2
	v_cndmask_b32_e64 v2, 0, 1, s[6:7]
	s_ashr_i32 s51, s29, 31
	v_add_u32_e32 v5, v3, v8
	s_ashr_i32 s52, s25, 31
	s_mul_i32 s54, s53, s26
	s_mul_i32 s55, s31, s30
	s_mov_b64 s[44:45], 0
	v_cmp_ne_u32_e64 s[0:1], 1, v2
	s_branch .LBB44_4
.LBB44_2:                               ;   in Loop: Header=BB44_4 Depth=1
	v_cvt_f16_f32_e32 v2, v15
.LBB44_3:                               ;   in Loop: Header=BB44_4 Depth=1
	v_lshlrev_b64 v[7:8], 1, v[0:1]
	v_add_co_u32_e32 v0, vcc, s49, v0
	v_addc_co_u32_e32 v1, vcc, 0, v1, vcc
	v_cmp_le_i64_e32 vcc, s[22:23], v[0:1]
	v_mov_b32_e32 v3, s41
	v_add_co_u32_e64 v7, s[2:3], s40, v7
	v_addc_co_u32_e64 v8, s[2:3], v3, v8, s[2:3]
	s_or_b64 s[44:45], vcc, s[44:45]
	global_store_short v[7:8], v2, off
	s_andn2_b64 exec, exec, s[44:45]
	s_cbranch_execz .LBB44_26
.LBB44_4:                               ; =>This Loop Header: Depth=1
                                        ;     Child Loop BB44_7 Depth 2
	s_and_b64 vcc, exec, s[0:1]
	s_cbranch_vccnz .LBB44_25
; %bb.5:                                ;   in Loop: Header=BB44_4 Depth=1
	v_sub_u32_e32 v2, 0, v0
	v_max_i32_e32 v2, v0, v2
	v_mul_hi_u32 v3, v2, v4
	v_ashrrev_i32_e32 v8, 31, v0
	v_xor_b32_e32 v8, s50, v8
	s_mov_b32 s56, 0
	v_mul_lo_u32 v7, v3, s24
	v_add_u32_e32 v9, 1, v3
	v_sub_u32_e32 v2, v2, v7
	v_cmp_le_u32_e32 vcc, s24, v2
	v_subrev_u32_e32 v7, s24, v2
	v_cndmask_b32_e32 v3, v3, v9, vcc
	v_cndmask_b32_e32 v2, v2, v7, vcc
	v_add_u32_e32 v7, 1, v3
	v_cmp_le_u32_e32 vcc, s24, v2
	v_cndmask_b32_e32 v2, v3, v7, vcc
	v_xor_b32_e32 v2, v2, v8
	v_sub_u32_e32 v2, v2, v8
	v_sub_u32_e32 v3, 0, v2
	v_max_i32_e32 v3, v2, v3
	v_mul_hi_u32 v7, v3, v5
	v_ashrrev_i32_e32 v9, 31, v2
	v_xor_b32_e32 v9, s51, v9
	v_mul_lo_u32 v8, v7, s33
	v_add_u32_e32 v10, 1, v7
	v_sub_u32_e32 v3, v3, v8
	v_cmp_le_u32_e32 vcc, s33, v3
	v_subrev_u32_e32 v8, s33, v3
	v_cndmask_b32_e32 v7, v7, v10, vcc
	v_cndmask_b32_e32 v3, v3, v8, vcc
	v_add_u32_e32 v8, 1, v7
	v_cmp_le_u32_e32 vcc, s33, v3
	v_cndmask_b32_e32 v3, v7, v8, vcc
	v_xor_b32_e32 v3, v3, v9
	v_sub_u32_e32 v3, v3, v9
	v_sub_u32_e32 v7, 0, v3
	v_max_i32_e32 v7, v3, v7
	v_mul_hi_u32 v8, v7, v6
	v_ashrrev_i32_e32 v10, 31, v3
	v_xor_b32_e32 v10, s52, v10
	v_mul_lo_u32 v9, v8, s48
	v_add_u32_e32 v11, 1, v8
	v_sub_u32_e32 v7, v7, v9
	v_cmp_le_u32_e32 vcc, s48, v7
	v_subrev_u32_e32 v9, s48, v7
	v_cndmask_b32_e32 v8, v8, v11, vcc
	v_cndmask_b32_e32 v7, v7, v9, vcc
	v_add_u32_e32 v9, 1, v8
	v_cmp_le_u32_e32 vcc, s48, v7
	v_cndmask_b32_e32 v7, v8, v9, vcc
	v_xor_b32_e32 v7, v7, v10
	v_sub_u32_e32 v7, v7, v10
	v_mul_lo_u32 v8, v7, s25
	v_mul_lo_u32 v10, v2, s28
	v_add_u32_e32 v9, s37, v2
	v_add_u32_e32 v11, s36, v0
	v_sub_u32_e32 v8, v3, v8
	v_mul_lo_u32 v3, v3, s29
	v_mul_lo_u32 v2, v7, s27
	v_sub_u32_e32 v13, v11, v10
	v_add_u32_e32 v10, s38, v10
	v_sub_u32_e32 v7, v9, v3
	v_or_b32_e32 v14, v7, v13
	v_and_b32_e32 v14, 1, v14
	v_cmp_eq_u32_e64 s[4:5], 1, v14
	v_sub_u32_e32 v14, v11, v10
	v_ashrrev_i32_e32 v15, 1, v13
	v_or_b32_e32 v16, v7, v14
	v_add_u32_e32 v10, s38, v10
	v_cmp_lt_i32_e64 s[6:7], -1, v15
	v_cmp_gt_i32_e64 s[8:9], s30, v15
	v_and_b32_e32 v16, 1, v16
	v_sub_u32_e32 v10, v11, v10
	v_ashrrev_i32_e32 v12, 1, v7
	s_and_b64 s[46:47], s[6:7], s[8:9]
	v_cmp_eq_u32_e64 s[6:7], 1, v16
	v_ashrrev_i32_e32 v16, 1, v14
	v_or_b32_e32 v7, v7, v10
	v_cmp_lt_i32_e64 s[8:9], -1, v16
	v_cmp_gt_i32_e64 s[10:11], s30, v16
	v_and_b32_e32 v7, 1, v7
	v_add_u32_e32 v3, s39, v3
	s_and_b64 s[60:61], s[8:9], s[10:11]
	v_cmp_eq_u32_e64 s[8:9], 1, v7
	v_sub_u32_e32 v7, v9, v3
	v_ashrrev_i32_e32 v17, 1, v10
	v_or_b32_e32 v18, v7, v13
	v_cmp_lt_i32_e64 s[10:11], -1, v17
	v_cmp_gt_i32_e64 s[12:13], s30, v17
	v_and_b32_e32 v18, 1, v18
	v_add_u32_e32 v3, s39, v3
	s_and_b64 s[64:65], s[10:11], s[12:13]
	v_ashrrev_i32_e32 v11, 1, v7
	v_cmp_eq_u32_e64 s[12:13], 1, v18
	v_or_b32_e32 v18, v7, v14
	v_or_b32_e32 v7, v7, v10
	v_sub_u32_e32 v3, v9, v3
	v_and_b32_e32 v7, 1, v7
	v_or_b32_e32 v9, v3, v13
	v_cmp_gt_i32_e64 s[2:3], s31, v12
	v_cmp_gt_i32_e64 s[10:11], s31, v11
	v_and_b32_e32 v18, 1, v18
	v_cmp_eq_u32_e64 s[16:17], 1, v7
	v_ashrrev_i32_e32 v7, 1, v3
	v_and_b32_e32 v9, 1, v9
	v_cmp_gt_i32_e32 vcc, 0, v12
	s_and_b64 s[58:59], s[2:3], s[46:47]
	s_and_b64 s[62:63], s[2:3], s[60:61]
	;; [unrolled: 1-line block ×3, first 2 shown]
	v_cmp_gt_i32_e64 s[2:3], 0, v11
	v_cmp_eq_u32_e64 s[14:15], 1, v18
	s_and_b64 s[72:73], s[10:11], s[64:65]
	v_cmp_gt_i32_e64 s[18:19], s31, v7
	v_cmp_eq_u32_e64 s[20:21], 1, v9
	v_or_b32_e32 v9, v3, v14
	v_or_b32_e32 v3, v3, v10
	s_and_b64 s[68:69], s[10:11], s[46:47]
	s_and_b64 s[70:71], s[10:11], s[60:61]
	v_cmp_gt_i32_e64 s[10:11], 0, v7
	s_and_b64 s[74:75], s[18:19], s[46:47]
	v_and_b32_e32 v3, 1, v3
	s_or_b64 s[4:5], s[4:5], vcc
	s_xor_b64 s[46:47], s[58:59], -1
	s_or_b64 s[12:13], s[12:13], s[2:3]
	s_or_b64 s[14:15], s[14:15], s[2:3]
	;; [unrolled: 1-line block ×3, first 2 shown]
	s_xor_b64 s[16:17], s[72:73], -1
	s_nor_b64 s[46:47], s[4:5], s[46:47]
	v_cmp_eq_u32_e64 s[4:5], 1, v3
	s_nor_b64 s[2:3], s[2:3], s[16:17]
	s_or_b64 s[16:17], s[20:21], s[10:11]
	v_mad_u64_u32 v[2:3], s[20:21], v8, s26, v[2:3]
	v_and_b32_e32 v9, 1, v9
	s_and_b64 s[60:61], s[18:19], s[60:61]
	v_mul_lo_u32 v3, s31, v2
	s_and_b64 s[64:65], s[18:19], s[64:65]
	v_cmp_eq_u32_e64 s[18:19], 1, v9
	s_or_b64 s[6:7], s[6:7], vcc
	v_add_u32_e32 v2, v7, v3
	v_add_u32_e32 v10, v11, v3
	;; [unrolled: 1-line block ×3, first 2 shown]
	s_xor_b64 s[58:59], s[62:63], -1
	v_mul_lo_u32 v9, s30, v2
	v_mul_lo_u32 v13, s30, v10
	;; [unrolled: 1-line block ×3, first 2 shown]
	s_nor_b64 s[6:7], s[6:7], s[58:59]
	s_or_b64 s[8:9], s[8:9], vcc
	s_xor_b64 s[58:59], s[66:67], -1
	v_mul_lo_u32 v2, s54, v8
	s_nor_b64 s[8:9], s[8:9], s[58:59]
	s_xor_b64 s[58:59], s[68:69], -1
	s_xor_b64 s[20:21], s[74:75], -1
	s_nor_b64 s[12:13], s[12:13], s[58:59]
	s_xor_b64 s[58:59], s[70:71], -1
	s_nor_b64 s[16:17], s[16:17], s[20:21]
	s_or_b64 s[18:19], s[18:19], s[10:11]
	s_xor_b64 s[20:21], s[60:61], -1
	s_or_b64 s[4:5], s[4:5], s[10:11]
	s_xor_b64 s[10:11], s[64:65], -1
	s_nor_b64 s[14:15], s[14:15], s[58:59]
	s_nor_b64 s[18:19], s[18:19], s[20:21]
	;; [unrolled: 1-line block ×3, first 2 shown]
	v_add_u32_e32 v7, v17, v9
	v_add_u32_e32 v8, v16, v9
	;; [unrolled: 1-line block ×9, first 2 shown]
	v_mov_b32_e32 v15, 0
	s_mov_b32 s20, s26
	s_branch .LBB44_7
.LBB44_6:                               ;   in Loop: Header=BB44_7 Depth=2
	s_or_b64 exec, exec, s[10:11]
	s_add_i32 s20, s20, -1
	s_add_i32 s56, s56, s55
	s_cmp_eq_u32 s20, 0
	v_add_u32_e32 v2, s53, v2
	s_cbranch_scc1 .LBB44_2
.LBB44_7:                               ;   Parent Loop BB44_4 Depth=1
                                        ; =>  This Inner Loop Header: Depth=2
	v_ashrrev_i32_e32 v3, 31, v2
	s_and_saveexec_b64 s[10:11], s[46:47]
	s_cbranch_execnz .LBB44_16
; %bb.8:                                ;   in Loop: Header=BB44_7 Depth=2
	s_or_b64 exec, exec, s[10:11]
	s_and_saveexec_b64 s[10:11], s[6:7]
	s_cbranch_execnz .LBB44_17
.LBB44_9:                               ;   in Loop: Header=BB44_7 Depth=2
	s_or_b64 exec, exec, s[10:11]
	s_and_saveexec_b64 s[10:11], s[8:9]
	s_cbranch_execnz .LBB44_18
.LBB44_10:                              ;   in Loop: Header=BB44_7 Depth=2
	s_or_b64 exec, exec, s[10:11]
	s_and_saveexec_b64 s[10:11], s[12:13]
	s_cbranch_execnz .LBB44_19
.LBB44_11:                              ;   in Loop: Header=BB44_7 Depth=2
	s_or_b64 exec, exec, s[10:11]
	s_and_saveexec_b64 s[10:11], s[14:15]
	s_cbranch_execnz .LBB44_20
.LBB44_12:                              ;   in Loop: Header=BB44_7 Depth=2
	s_or_b64 exec, exec, s[10:11]
	s_and_saveexec_b64 s[10:11], s[2:3]
	s_cbranch_execnz .LBB44_21
.LBB44_13:                              ;   in Loop: Header=BB44_7 Depth=2
	s_or_b64 exec, exec, s[10:11]
	s_and_saveexec_b64 s[10:11], s[16:17]
	s_cbranch_execnz .LBB44_22
.LBB44_14:                              ;   in Loop: Header=BB44_7 Depth=2
	s_or_b64 exec, exec, s[10:11]
	s_and_saveexec_b64 s[10:11], s[18:19]
	s_cbranch_execnz .LBB44_23
.LBB44_15:                              ;   in Loop: Header=BB44_7 Depth=2
	s_or_b64 exec, exec, s[10:11]
	s_and_saveexec_b64 s[10:11], s[4:5]
	s_cbranch_execz .LBB44_6
	s_branch .LBB44_24
.LBB44_16:                              ;   in Loop: Header=BB44_7 Depth=2
	v_lshlrev_b64 v[18:19], 1, v[2:3]
	v_mov_b32_e32 v20, s43
	v_add_co_u32_e32 v18, vcc, s42, v18
	v_add_u32_e32 v17, s56, v16
	v_addc_co_u32_e32 v19, vcc, v20, v19, vcc
	global_load_ushort v19, v[18:19], off
	v_ashrrev_i32_e32 v18, 31, v17
	v_lshlrev_b64 v[17:18], 1, v[17:18]
	v_mov_b32_e32 v20, s35
	v_add_co_u32_e32 v17, vcc, s34, v17
	v_addc_co_u32_e32 v18, vcc, v20, v18, vcc
	global_load_ushort v17, v[17:18], off
	s_waitcnt vmcnt(0)
	v_fma_mix_f32 v15, v19, v17, v15 op_sel_hi:[1,1,0]
	s_or_b64 exec, exec, s[10:11]
	s_and_saveexec_b64 s[10:11], s[6:7]
	s_cbranch_execz .LBB44_9
.LBB44_17:                              ;   in Loop: Header=BB44_7 Depth=2
	v_lshlrev_b64 v[18:19], 1, v[2:3]
	v_mov_b32_e32 v20, s43
	v_add_co_u32_e32 v18, vcc, s42, v18
	v_add_u32_e32 v17, s56, v14
	v_addc_co_u32_e32 v19, vcc, v20, v19, vcc
	global_load_ushort v19, v[18:19], off offset:2
	v_ashrrev_i32_e32 v18, 31, v17
	v_lshlrev_b64 v[17:18], 1, v[17:18]
	v_mov_b32_e32 v20, s35
	v_add_co_u32_e32 v17, vcc, s34, v17
	v_addc_co_u32_e32 v18, vcc, v20, v18, vcc
	global_load_ushort v17, v[17:18], off
	s_waitcnt vmcnt(0)
	v_fma_mix_f32 v15, v19, v17, v15 op_sel_hi:[1,1,0]
	s_or_b64 exec, exec, s[10:11]
	s_and_saveexec_b64 s[10:11], s[8:9]
	s_cbranch_execz .LBB44_10
.LBB44_18:                              ;   in Loop: Header=BB44_7 Depth=2
	v_lshlrev_b64 v[18:19], 1, v[2:3]
	v_mov_b32_e32 v20, s43
	v_add_co_u32_e32 v18, vcc, s42, v18
	v_add_u32_e32 v17, s56, v13
	v_addc_co_u32_e32 v19, vcc, v20, v19, vcc
	global_load_ushort v19, v[18:19], off offset:4
	v_ashrrev_i32_e32 v18, 31, v17
	v_lshlrev_b64 v[17:18], 1, v[17:18]
	v_mov_b32_e32 v20, s35
	v_add_co_u32_e32 v17, vcc, s34, v17
	v_addc_co_u32_e32 v18, vcc, v20, v18, vcc
	global_load_ushort v17, v[17:18], off
	s_waitcnt vmcnt(0)
	v_fma_mix_f32 v15, v19, v17, v15 op_sel_hi:[1,1,0]
	s_or_b64 exec, exec, s[10:11]
	s_and_saveexec_b64 s[10:11], s[12:13]
	s_cbranch_execz .LBB44_11
.LBB44_19:                              ;   in Loop: Header=BB44_7 Depth=2
	v_lshlrev_b64 v[18:19], 1, v[2:3]
	v_mov_b32_e32 v20, s43
	v_add_co_u32_e32 v18, vcc, s42, v18
	v_add_u32_e32 v17, s56, v12
	v_addc_co_u32_e32 v19, vcc, v20, v19, vcc
	global_load_ushort v19, v[18:19], off offset:6
	v_ashrrev_i32_e32 v18, 31, v17
	v_lshlrev_b64 v[17:18], 1, v[17:18]
	v_mov_b32_e32 v20, s35
	v_add_co_u32_e32 v17, vcc, s34, v17
	v_addc_co_u32_e32 v18, vcc, v20, v18, vcc
	global_load_ushort v17, v[17:18], off
	s_waitcnt vmcnt(0)
	v_fma_mix_f32 v15, v19, v17, v15 op_sel_hi:[1,1,0]
	s_or_b64 exec, exec, s[10:11]
	s_and_saveexec_b64 s[10:11], s[14:15]
	s_cbranch_execz .LBB44_12
.LBB44_20:                              ;   in Loop: Header=BB44_7 Depth=2
	v_lshlrev_b64 v[18:19], 1, v[2:3]
	v_mov_b32_e32 v20, s43
	v_add_co_u32_e32 v18, vcc, s42, v18
	v_add_u32_e32 v17, s56, v11
	v_addc_co_u32_e32 v19, vcc, v20, v19, vcc
	global_load_ushort v19, v[18:19], off offset:8
	v_ashrrev_i32_e32 v18, 31, v17
	v_lshlrev_b64 v[17:18], 1, v[17:18]
	v_mov_b32_e32 v20, s35
	v_add_co_u32_e32 v17, vcc, s34, v17
	v_addc_co_u32_e32 v18, vcc, v20, v18, vcc
	global_load_ushort v17, v[17:18], off
	s_waitcnt vmcnt(0)
	v_fma_mix_f32 v15, v19, v17, v15 op_sel_hi:[1,1,0]
	s_or_b64 exec, exec, s[10:11]
	s_and_saveexec_b64 s[10:11], s[2:3]
	s_cbranch_execz .LBB44_13
.LBB44_21:                              ;   in Loop: Header=BB44_7 Depth=2
	v_lshlrev_b64 v[18:19], 1, v[2:3]
	v_mov_b32_e32 v20, s43
	v_add_co_u32_e32 v18, vcc, s42, v18
	v_add_u32_e32 v17, s56, v10
	v_addc_co_u32_e32 v19, vcc, v20, v19, vcc
	global_load_ushort v19, v[18:19], off offset:10
	v_ashrrev_i32_e32 v18, 31, v17
	v_lshlrev_b64 v[17:18], 1, v[17:18]
	v_mov_b32_e32 v20, s35
	v_add_co_u32_e32 v17, vcc, s34, v17
	v_addc_co_u32_e32 v18, vcc, v20, v18, vcc
	global_load_ushort v17, v[17:18], off
	s_waitcnt vmcnt(0)
	v_fma_mix_f32 v15, v19, v17, v15 op_sel_hi:[1,1,0]
	s_or_b64 exec, exec, s[10:11]
	s_and_saveexec_b64 s[10:11], s[16:17]
	s_cbranch_execz .LBB44_14
.LBB44_22:                              ;   in Loop: Header=BB44_7 Depth=2
	v_lshlrev_b64 v[18:19], 1, v[2:3]
	v_mov_b32_e32 v20, s43
	v_add_co_u32_e32 v18, vcc, s42, v18
	v_add_u32_e32 v17, s56, v9
	v_addc_co_u32_e32 v19, vcc, v20, v19, vcc
	global_load_ushort v19, v[18:19], off offset:12
	v_ashrrev_i32_e32 v18, 31, v17
	v_lshlrev_b64 v[17:18], 1, v[17:18]
	v_mov_b32_e32 v20, s35
	v_add_co_u32_e32 v17, vcc, s34, v17
	v_addc_co_u32_e32 v18, vcc, v20, v18, vcc
	global_load_ushort v17, v[17:18], off
	s_waitcnt vmcnt(0)
	v_fma_mix_f32 v15, v19, v17, v15 op_sel_hi:[1,1,0]
	s_or_b64 exec, exec, s[10:11]
	s_and_saveexec_b64 s[10:11], s[18:19]
	s_cbranch_execz .LBB44_15
.LBB44_23:                              ;   in Loop: Header=BB44_7 Depth=2
	v_lshlrev_b64 v[18:19], 1, v[2:3]
	v_mov_b32_e32 v20, s43
	v_add_co_u32_e32 v18, vcc, s42, v18
	v_add_u32_e32 v17, s56, v8
	v_addc_co_u32_e32 v19, vcc, v20, v19, vcc
	global_load_ushort v19, v[18:19], off offset:14
	v_ashrrev_i32_e32 v18, 31, v17
	v_lshlrev_b64 v[17:18], 1, v[17:18]
	v_mov_b32_e32 v20, s35
	v_add_co_u32_e32 v17, vcc, s34, v17
	v_addc_co_u32_e32 v18, vcc, v20, v18, vcc
	global_load_ushort v17, v[17:18], off
	s_waitcnt vmcnt(0)
	v_fma_mix_f32 v15, v19, v17, v15 op_sel_hi:[1,1,0]
	s_or_b64 exec, exec, s[10:11]
	s_and_saveexec_b64 s[10:11], s[4:5]
	s_cbranch_execz .LBB44_6
.LBB44_24:                              ;   in Loop: Header=BB44_7 Depth=2
	v_lshlrev_b64 v[18:19], 1, v[2:3]
	v_mov_b32_e32 v3, s43
	v_add_co_u32_e32 v18, vcc, s42, v18
	v_add_u32_e32 v17, s56, v7
	v_addc_co_u32_e32 v19, vcc, v3, v19, vcc
	global_load_ushort v3, v[18:19], off offset:16
	v_ashrrev_i32_e32 v18, 31, v17
	v_lshlrev_b64 v[17:18], 1, v[17:18]
	v_mov_b32_e32 v19, s35
	v_add_co_u32_e32 v17, vcc, s34, v17
	v_addc_co_u32_e32 v18, vcc, v19, v18, vcc
	global_load_ushort v17, v[17:18], off
	s_waitcnt vmcnt(0)
	v_fma_mix_f32 v15, v3, v17, v15 op_sel_hi:[1,1,0]
	s_branch .LBB44_6
.LBB44_25:                              ;   in Loop: Header=BB44_4 Depth=1
	v_mov_b32_e32 v2, 0
	s_branch .LBB44_3
.LBB44_26:
	s_endpgm
	.section	.rodata,"a",@progbits
	.p2align	6, 0x0
	.amdhsa_kernel _ZN2at6native12_GLOBAL__N_132conv_depthwise2d_backward_kernelILi3ELi2EN3c104HalfEiEEvN5torch10headeronly6detail27GenericPackedTensorAccessorINS7_14TensorAccessorINS3_8ArrayRefIlEEKT1_Lm3ENS6_16DefaultPtrTraitsEiEENS_6detail16IndexBoundsCheckILm4EiEESD_Lm4ESE_iEENS8_INS9_ISB_SC_Lm3ESE_iEESI_SC_Lm4ESE_iEESJ_T2_iiiiiiiiiiiiiii
		.amdhsa_group_segment_fixed_size 0
		.amdhsa_private_segment_fixed_size 0
		.amdhsa_kernarg_size 440
		.amdhsa_user_sgpr_count 6
		.amdhsa_user_sgpr_private_segment_buffer 1
		.amdhsa_user_sgpr_dispatch_ptr 0
		.amdhsa_user_sgpr_queue_ptr 0
		.amdhsa_user_sgpr_kernarg_segment_ptr 1
		.amdhsa_user_sgpr_dispatch_id 0
		.amdhsa_user_sgpr_flat_scratch_init 0
		.amdhsa_user_sgpr_private_segment_size 0
		.amdhsa_uses_dynamic_stack 0
		.amdhsa_system_sgpr_private_segment_wavefront_offset 0
		.amdhsa_system_sgpr_workgroup_id_x 1
		.amdhsa_system_sgpr_workgroup_id_y 0
		.amdhsa_system_sgpr_workgroup_id_z 0
		.amdhsa_system_sgpr_workgroup_info 0
		.amdhsa_system_vgpr_workitem_id 0
		.amdhsa_next_free_vgpr 21
		.amdhsa_next_free_sgpr 76
		.amdhsa_reserve_vcc 1
		.amdhsa_reserve_flat_scratch 0
		.amdhsa_float_round_mode_32 0
		.amdhsa_float_round_mode_16_64 0
		.amdhsa_float_denorm_mode_32 3
		.amdhsa_float_denorm_mode_16_64 3
		.amdhsa_dx10_clamp 1
		.amdhsa_ieee_mode 1
		.amdhsa_fp16_overflow 0
		.amdhsa_exception_fp_ieee_invalid_op 0
		.amdhsa_exception_fp_denorm_src 0
		.amdhsa_exception_fp_ieee_div_zero 0
		.amdhsa_exception_fp_ieee_overflow 0
		.amdhsa_exception_fp_ieee_underflow 0
		.amdhsa_exception_fp_ieee_inexact 0
		.amdhsa_exception_int_div_zero 0
	.end_amdhsa_kernel
	.section	.text._ZN2at6native12_GLOBAL__N_132conv_depthwise2d_backward_kernelILi3ELi2EN3c104HalfEiEEvN5torch10headeronly6detail27GenericPackedTensorAccessorINS7_14TensorAccessorINS3_8ArrayRefIlEEKT1_Lm3ENS6_16DefaultPtrTraitsEiEENS_6detail16IndexBoundsCheckILm4EiEESD_Lm4ESE_iEENS8_INS9_ISB_SC_Lm3ESE_iEESI_SC_Lm4ESE_iEESJ_T2_iiiiiiiiiiiiiii,"axG",@progbits,_ZN2at6native12_GLOBAL__N_132conv_depthwise2d_backward_kernelILi3ELi2EN3c104HalfEiEEvN5torch10headeronly6detail27GenericPackedTensorAccessorINS7_14TensorAccessorINS3_8ArrayRefIlEEKT1_Lm3ENS6_16DefaultPtrTraitsEiEENS_6detail16IndexBoundsCheckILm4EiEESD_Lm4ESE_iEENS8_INS9_ISB_SC_Lm3ESE_iEESI_SC_Lm4ESE_iEESJ_T2_iiiiiiiiiiiiiii,comdat
.Lfunc_end44:
	.size	_ZN2at6native12_GLOBAL__N_132conv_depthwise2d_backward_kernelILi3ELi2EN3c104HalfEiEEvN5torch10headeronly6detail27GenericPackedTensorAccessorINS7_14TensorAccessorINS3_8ArrayRefIlEEKT1_Lm3ENS6_16DefaultPtrTraitsEiEENS_6detail16IndexBoundsCheckILm4EiEESD_Lm4ESE_iEENS8_INS9_ISB_SC_Lm3ESE_iEESI_SC_Lm4ESE_iEESJ_T2_iiiiiiiiiiiiiii, .Lfunc_end44-_ZN2at6native12_GLOBAL__N_132conv_depthwise2d_backward_kernelILi3ELi2EN3c104HalfEiEEvN5torch10headeronly6detail27GenericPackedTensorAccessorINS7_14TensorAccessorINS3_8ArrayRefIlEEKT1_Lm3ENS6_16DefaultPtrTraitsEiEENS_6detail16IndexBoundsCheckILm4EiEESD_Lm4ESE_iEENS8_INS9_ISB_SC_Lm3ESE_iEESI_SC_Lm4ESE_iEESJ_T2_iiiiiiiiiiiiiii
                                        ; -- End function
	.set _ZN2at6native12_GLOBAL__N_132conv_depthwise2d_backward_kernelILi3ELi2EN3c104HalfEiEEvN5torch10headeronly6detail27GenericPackedTensorAccessorINS7_14TensorAccessorINS3_8ArrayRefIlEEKT1_Lm3ENS6_16DefaultPtrTraitsEiEENS_6detail16IndexBoundsCheckILm4EiEESD_Lm4ESE_iEENS8_INS9_ISB_SC_Lm3ESE_iEESI_SC_Lm4ESE_iEESJ_T2_iiiiiiiiiiiiiii.num_vgpr, 21
	.set _ZN2at6native12_GLOBAL__N_132conv_depthwise2d_backward_kernelILi3ELi2EN3c104HalfEiEEvN5torch10headeronly6detail27GenericPackedTensorAccessorINS7_14TensorAccessorINS3_8ArrayRefIlEEKT1_Lm3ENS6_16DefaultPtrTraitsEiEENS_6detail16IndexBoundsCheckILm4EiEESD_Lm4ESE_iEENS8_INS9_ISB_SC_Lm3ESE_iEESI_SC_Lm4ESE_iEESJ_T2_iiiiiiiiiiiiiii.num_agpr, 0
	.set _ZN2at6native12_GLOBAL__N_132conv_depthwise2d_backward_kernelILi3ELi2EN3c104HalfEiEEvN5torch10headeronly6detail27GenericPackedTensorAccessorINS7_14TensorAccessorINS3_8ArrayRefIlEEKT1_Lm3ENS6_16DefaultPtrTraitsEiEENS_6detail16IndexBoundsCheckILm4EiEESD_Lm4ESE_iEENS8_INS9_ISB_SC_Lm3ESE_iEESI_SC_Lm4ESE_iEESJ_T2_iiiiiiiiiiiiiii.numbered_sgpr, 76
	.set _ZN2at6native12_GLOBAL__N_132conv_depthwise2d_backward_kernelILi3ELi2EN3c104HalfEiEEvN5torch10headeronly6detail27GenericPackedTensorAccessorINS7_14TensorAccessorINS3_8ArrayRefIlEEKT1_Lm3ENS6_16DefaultPtrTraitsEiEENS_6detail16IndexBoundsCheckILm4EiEESD_Lm4ESE_iEENS8_INS9_ISB_SC_Lm3ESE_iEESI_SC_Lm4ESE_iEESJ_T2_iiiiiiiiiiiiiii.num_named_barrier, 0
	.set _ZN2at6native12_GLOBAL__N_132conv_depthwise2d_backward_kernelILi3ELi2EN3c104HalfEiEEvN5torch10headeronly6detail27GenericPackedTensorAccessorINS7_14TensorAccessorINS3_8ArrayRefIlEEKT1_Lm3ENS6_16DefaultPtrTraitsEiEENS_6detail16IndexBoundsCheckILm4EiEESD_Lm4ESE_iEENS8_INS9_ISB_SC_Lm3ESE_iEESI_SC_Lm4ESE_iEESJ_T2_iiiiiiiiiiiiiii.private_seg_size, 0
	.set _ZN2at6native12_GLOBAL__N_132conv_depthwise2d_backward_kernelILi3ELi2EN3c104HalfEiEEvN5torch10headeronly6detail27GenericPackedTensorAccessorINS7_14TensorAccessorINS3_8ArrayRefIlEEKT1_Lm3ENS6_16DefaultPtrTraitsEiEENS_6detail16IndexBoundsCheckILm4EiEESD_Lm4ESE_iEENS8_INS9_ISB_SC_Lm3ESE_iEESI_SC_Lm4ESE_iEESJ_T2_iiiiiiiiiiiiiii.uses_vcc, 1
	.set _ZN2at6native12_GLOBAL__N_132conv_depthwise2d_backward_kernelILi3ELi2EN3c104HalfEiEEvN5torch10headeronly6detail27GenericPackedTensorAccessorINS7_14TensorAccessorINS3_8ArrayRefIlEEKT1_Lm3ENS6_16DefaultPtrTraitsEiEENS_6detail16IndexBoundsCheckILm4EiEESD_Lm4ESE_iEENS8_INS9_ISB_SC_Lm3ESE_iEESI_SC_Lm4ESE_iEESJ_T2_iiiiiiiiiiiiiii.uses_flat_scratch, 0
	.set _ZN2at6native12_GLOBAL__N_132conv_depthwise2d_backward_kernelILi3ELi2EN3c104HalfEiEEvN5torch10headeronly6detail27GenericPackedTensorAccessorINS7_14TensorAccessorINS3_8ArrayRefIlEEKT1_Lm3ENS6_16DefaultPtrTraitsEiEENS_6detail16IndexBoundsCheckILm4EiEESD_Lm4ESE_iEENS8_INS9_ISB_SC_Lm3ESE_iEESI_SC_Lm4ESE_iEESJ_T2_iiiiiiiiiiiiiii.has_dyn_sized_stack, 0
	.set _ZN2at6native12_GLOBAL__N_132conv_depthwise2d_backward_kernelILi3ELi2EN3c104HalfEiEEvN5torch10headeronly6detail27GenericPackedTensorAccessorINS7_14TensorAccessorINS3_8ArrayRefIlEEKT1_Lm3ENS6_16DefaultPtrTraitsEiEENS_6detail16IndexBoundsCheckILm4EiEESD_Lm4ESE_iEENS8_INS9_ISB_SC_Lm3ESE_iEESI_SC_Lm4ESE_iEESJ_T2_iiiiiiiiiiiiiii.has_recursion, 0
	.set _ZN2at6native12_GLOBAL__N_132conv_depthwise2d_backward_kernelILi3ELi2EN3c104HalfEiEEvN5torch10headeronly6detail27GenericPackedTensorAccessorINS7_14TensorAccessorINS3_8ArrayRefIlEEKT1_Lm3ENS6_16DefaultPtrTraitsEiEENS_6detail16IndexBoundsCheckILm4EiEESD_Lm4ESE_iEENS8_INS9_ISB_SC_Lm3ESE_iEESI_SC_Lm4ESE_iEESJ_T2_iiiiiiiiiiiiiii.has_indirect_call, 0
	.section	.AMDGPU.csdata,"",@progbits
; Kernel info:
; codeLenInByte = 2176
; TotalNumSgprs: 80
; NumVgprs: 21
; ScratchSize: 0
; MemoryBound: 0
; FloatMode: 240
; IeeeMode: 1
; LDSByteSize: 0 bytes/workgroup (compile time only)
; SGPRBlocks: 9
; VGPRBlocks: 5
; NumSGPRsForWavesPerEU: 80
; NumVGPRsForWavesPerEU: 21
; Occupancy: 10
; WaveLimiterHint : 0
; COMPUTE_PGM_RSRC2:SCRATCH_EN: 0
; COMPUTE_PGM_RSRC2:USER_SGPR: 6
; COMPUTE_PGM_RSRC2:TRAP_HANDLER: 0
; COMPUTE_PGM_RSRC2:TGID_X_EN: 1
; COMPUTE_PGM_RSRC2:TGID_Y_EN: 0
; COMPUTE_PGM_RSRC2:TGID_Z_EN: 0
; COMPUTE_PGM_RSRC2:TIDIG_COMP_CNT: 0
	.section	.text._ZN2at6native12_GLOBAL__N_132conv_depthwise2d_backward_kernelILi3ELi0EN3c104HalfEiEEvN5torch10headeronly6detail27GenericPackedTensorAccessorINS7_14TensorAccessorINS3_8ArrayRefIlEEKT1_Lm3ENS6_16DefaultPtrTraitsEiEENS_6detail16IndexBoundsCheckILm4EiEESD_Lm4ESE_iEENS8_INS9_ISB_SC_Lm3ESE_iEESI_SC_Lm4ESE_iEESJ_T2_iiiiiiiiiiiiiii,"axG",@progbits,_ZN2at6native12_GLOBAL__N_132conv_depthwise2d_backward_kernelILi3ELi0EN3c104HalfEiEEvN5torch10headeronly6detail27GenericPackedTensorAccessorINS7_14TensorAccessorINS3_8ArrayRefIlEEKT1_Lm3ENS6_16DefaultPtrTraitsEiEENS_6detail16IndexBoundsCheckILm4EiEESD_Lm4ESE_iEENS8_INS9_ISB_SC_Lm3ESE_iEESI_SC_Lm4ESE_iEESJ_T2_iiiiiiiiiiiiiii,comdat
	.globl	_ZN2at6native12_GLOBAL__N_132conv_depthwise2d_backward_kernelILi3ELi0EN3c104HalfEiEEvN5torch10headeronly6detail27GenericPackedTensorAccessorINS7_14TensorAccessorINS3_8ArrayRefIlEEKT1_Lm3ENS6_16DefaultPtrTraitsEiEENS_6detail16IndexBoundsCheckILm4EiEESD_Lm4ESE_iEENS8_INS9_ISB_SC_Lm3ESE_iEESI_SC_Lm4ESE_iEESJ_T2_iiiiiiiiiiiiiii ; -- Begin function _ZN2at6native12_GLOBAL__N_132conv_depthwise2d_backward_kernelILi3ELi0EN3c104HalfEiEEvN5torch10headeronly6detail27GenericPackedTensorAccessorINS7_14TensorAccessorINS3_8ArrayRefIlEEKT1_Lm3ENS6_16DefaultPtrTraitsEiEENS_6detail16IndexBoundsCheckILm4EiEESD_Lm4ESE_iEENS8_INS9_ISB_SC_Lm3ESE_iEESI_SC_Lm4ESE_iEESJ_T2_iiiiiiiiiiiiiii
	.p2align	8
	.type	_ZN2at6native12_GLOBAL__N_132conv_depthwise2d_backward_kernelILi3ELi0EN3c104HalfEiEEvN5torch10headeronly6detail27GenericPackedTensorAccessorINS7_14TensorAccessorINS3_8ArrayRefIlEEKT1_Lm3ENS6_16DefaultPtrTraitsEiEENS_6detail16IndexBoundsCheckILm4EiEESD_Lm4ESE_iEENS8_INS9_ISB_SC_Lm3ESE_iEESI_SC_Lm4ESE_iEESJ_T2_iiiiiiiiiiiiiii,@function
_ZN2at6native12_GLOBAL__N_132conv_depthwise2d_backward_kernelILi3ELi0EN3c104HalfEiEEvN5torch10headeronly6detail27GenericPackedTensorAccessorINS7_14TensorAccessorINS3_8ArrayRefIlEEKT1_Lm3ENS6_16DefaultPtrTraitsEiEENS_6detail16IndexBoundsCheckILm4EiEESD_Lm4ESE_iEENS8_INS9_ISB_SC_Lm3ESE_iEESI_SC_Lm4ESE_iEESJ_T2_iiiiiiiiiiiiiii: ; @_ZN2at6native12_GLOBAL__N_132conv_depthwise2d_backward_kernelILi3ELi0EN3c104HalfEiEEvN5torch10headeronly6detail27GenericPackedTensorAccessorINS7_14TensorAccessorINS3_8ArrayRefIlEEKT1_Lm3ENS6_16DefaultPtrTraitsEiEENS_6detail16IndexBoundsCheckILm4EiEESD_Lm4ESE_iEENS8_INS9_ISB_SC_Lm3ESE_iEESI_SC_Lm4ESE_iEESJ_T2_iiiiiiiiiiiiiii
; %bb.0:
	s_load_dword s2, s[4:5], 0xc4
	s_load_dwordx16 s[36:51], s[4:5], 0x78
	s_add_u32 s0, s4, 0xb8
	s_addc_u32 s1, s5, 0
	v_mov_b32_e32 v1, 0
	s_waitcnt lgkmcnt(0)
	s_and_b32 s2, s2, 0xffff
	v_mov_b32_e32 v2, s6
	v_mad_u64_u32 v[0:1], s[6:7], s2, v2, v[0:1]
	s_ashr_i32 s29, s36, 31
	s_mov_b32 s28, s36
	v_cmp_gt_i64_e32 vcc, s[28:29], v[0:1]
	s_and_saveexec_b64 s[6:7], vcc
	s_cbranch_execz .LBB45_78
; %bb.1:
	s_cmp_gt_i32 s38, 0
	s_load_dword s3, s[0:1], 0x0
	s_cselect_b64 s[0:1], -1, 0
	s_abs_i32 s33, s40
	v_cvt_f32_u32_e32 v2, s33
	s_abs_i32 s36, s41
	v_cvt_f32_u32_e32 v3, s36
	s_abs_i32 s80, s37
	v_rcp_iflag_f32_e32 v2, v2
	s_waitcnt lgkmcnt(0)
	s_mul_i32 s78, s3, s2
	v_rcp_iflag_f32_e32 v3, v3
	s_sub_i32 s2, 0, s33
	v_mul_f32_e32 v2, 0x4f7ffffe, v2
	v_cvt_u32_f32_e32 v2, v2
	v_mul_f32_e32 v3, 0x4f7ffffe, v3
	v_cvt_f32_u32_e32 v5, s80
	v_cvt_u32_f32_e32 v3, v3
	v_mul_lo_u32 v4, s2, v2
	s_sub_i32 s2, 0, s36
	v_rcp_iflag_f32_e32 v5, v5
	v_mul_lo_u32 v6, s2, v3
	v_mul_hi_u32 v4, v2, v4
	s_abs_i32 s82, s47
	v_mul_f32_e32 v5, 0x4f7ffffe, v5
	s_abs_i32 s83, s46
	v_add_u32_e32 v4, v2, v4
	v_mul_hi_u32 v2, v3, v6
	v_cvt_u32_f32_e32 v6, v5
	v_cvt_f32_u32_e32 v5, s82
	v_cvt_f32_u32_e32 v7, s83
	s_sub_i32 s2, 0, s80
	v_mul_lo_u32 v8, s2, v6
	v_rcp_iflag_f32_e32 v9, v5
	v_add_u32_e32 v5, v3, v2
	v_rcp_iflag_f32_e32 v2, v7
	s_sub_i32 s2, 0, s82
	v_mul_f32_e32 v7, 0x4f7ffffe, v9
	v_cvt_u32_f32_e32 v7, v7
	v_mul_f32_e32 v2, 0x4f7ffffe, v2
	v_cvt_u32_f32_e32 v2, v2
	v_mul_hi_u32 v3, v6, v8
	v_mul_lo_u32 v8, s2, v7
	s_sub_i32 s2, 0, s83
	v_mul_lo_u32 v9, s2, v2
	s_load_dwordx2 s[30:31], s[4:5], 0x0
	s_load_dwordx2 s[34:35], s[4:5], 0x28
	;; [unrolled: 1-line block ×3, first 2 shown]
	v_mul_hi_u32 v8, v7, v8
	v_add_u32_e32 v6, v6, v3
	v_mul_hi_u32 v3, v2, v9
	s_mul_i32 s87, s45, s44
	v_add_u32_e32 v7, v7, v8
	s_ashr_i32 s79, s40, 31
	v_add_u32_e32 v8, v2, v3
	v_cndmask_b32_e64 v2, 0, 1, s[0:1]
	s_ashr_i32 s81, s41, 31
	s_ashr_i32 s84, s37, 31
	;; [unrolled: 1-line block ×4, first 2 shown]
	s_mul_i32 s88, s87, s38
	s_mul_i32 s89, s43, s42
	s_mov_b64 s[44:45], 0
	v_cmp_ne_u32_e64 s[0:1], 1, v2
	s_branch .LBB45_4
.LBB45_2:                               ;   in Loop: Header=BB45_4 Depth=1
	v_cvt_f16_f32_e32 v2, v18
.LBB45_3:                               ;   in Loop: Header=BB45_4 Depth=1
	v_lshlrev_b64 v[9:10], 1, v[0:1]
	v_add_co_u32_e32 v0, vcc, s78, v0
	v_addc_co_u32_e32 v1, vcc, 0, v1, vcc
	v_cmp_le_i64_e32 vcc, s[28:29], v[0:1]
	s_waitcnt lgkmcnt(0)
	v_mov_b32_e32 v3, s35
	v_add_co_u32_e64 v9, s[2:3], s34, v9
	v_addc_co_u32_e64 v10, s[2:3], v3, v10, s[2:3]
	s_or_b64 s[44:45], vcc, s[44:45]
	global_store_short v[9:10], v2, off
	s_andn2_b64 exec, exec, s[44:45]
	s_cbranch_execz .LBB45_78
.LBB45_4:                               ; =>This Loop Header: Depth=1
                                        ;     Child Loop BB45_9 Depth 2
	s_and_b64 vcc, exec, s[0:1]
	s_cbranch_vccnz .LBB45_77
; %bb.5:                                ;   in Loop: Header=BB45_4 Depth=1
	v_sub_u32_e32 v2, 0, v0
	v_max_i32_e32 v2, v0, v2
	v_mul_hi_u32 v3, v2, v4
	v_ashrrev_i32_e32 v10, 31, v0
	v_xor_b32_e32 v10, s79, v10
	s_mov_b32 s90, 0
	v_mul_lo_u32 v9, v3, s33
	v_add_u32_e32 v11, 1, v3
	s_mov_b32 s91, s38
	v_sub_u32_e32 v2, v2, v9
	v_subrev_u32_e32 v9, s33, v2
	v_cmp_le_u32_e32 vcc, s33, v2
	v_cndmask_b32_e32 v3, v3, v11, vcc
	v_cndmask_b32_e32 v2, v2, v9, vcc
	v_add_u32_e32 v9, 1, v3
	v_cmp_le_u32_e32 vcc, s33, v2
	v_cndmask_b32_e32 v2, v3, v9, vcc
	v_xor_b32_e32 v2, v2, v10
	v_sub_u32_e32 v11, v2, v10
	v_sub_u32_e32 v2, 0, v11
	v_max_i32_e32 v2, v11, v2
	v_mul_hi_u32 v3, v2, v5
	v_ashrrev_i32_e32 v10, 31, v11
	v_xor_b32_e32 v10, s81, v10
	v_mul_lo_u32 v9, v3, s36
	v_add_u32_e32 v12, 1, v3
	v_sub_u32_e32 v2, v2, v9
	v_subrev_u32_e32 v9, s36, v2
	v_cmp_le_u32_e32 vcc, s36, v2
	v_cndmask_b32_e32 v3, v3, v12, vcc
	v_cndmask_b32_e32 v2, v2, v9, vcc
	v_add_u32_e32 v9, 1, v3
	v_cmp_le_u32_e32 vcc, s36, v2
	v_cndmask_b32_e32 v2, v3, v9, vcc
	v_xor_b32_e32 v2, v2, v10
	v_sub_u32_e32 v2, v2, v10
	v_sub_u32_e32 v3, 0, v2
	v_max_i32_e32 v3, v2, v3
	v_mul_hi_u32 v9, v3, v6
	v_mul_lo_u32 v13, v2, s41
	v_ashrrev_i32_e32 v10, 31, v2
	v_xor_b32_e32 v10, s84, v10
	v_mul_lo_u32 v12, v9, s80
	v_add_u32_e32 v14, 1, v9
	v_sub_u32_e32 v3, v3, v12
	v_subrev_u32_e32 v12, s80, v3
	v_cmp_le_u32_e32 vcc, s80, v3
	v_cndmask_b32_e32 v3, v3, v12, vcc
	v_add_u32_e32 v12, s49, v11
	v_cndmask_b32_e32 v9, v9, v14, vcc
	v_sub_u32_e32 v14, v12, v13
	v_sub_u32_e32 v15, 0, v14
	v_max_i32_e32 v15, v14, v15
	v_mul_hi_u32 v16, v15, v7
	v_add_u32_e32 v17, 1, v9
	v_cmp_le_u32_e32 vcc, s80, v3
	v_cndmask_b32_e32 v3, v9, v17, vcc
	v_mul_lo_u32 v9, v16, s82
	v_xor_b32_e32 v3, v3, v10
	v_sub_u32_e32 v10, v3, v10
	v_add_u32_e32 v13, s51, v13
	v_sub_u32_e32 v3, v15, v9
	v_add_u32_e32 v9, 1, v16
	v_cmp_le_u32_e32 vcc, s82, v3
	v_subrev_u32_e32 v15, s82, v3
	v_cndmask_b32_e32 v9, v16, v9, vcc
	v_cndmask_b32_e32 v15, v3, v15, vcc
	v_ashrrev_i32_e32 v3, 31, v14
	v_add_u32_e32 v16, 1, v9
	v_cmp_le_u32_e32 vcc, s82, v15
	v_sub_u32_e32 v21, v12, v13
	v_xor_b32_e32 v3, s85, v3
	v_cndmask_b32_e32 v9, v9, v16, vcc
	v_sub_u32_e32 v16, 0, v21
	v_xor_b32_e32 v9, v9, v3
	v_max_i32_e32 v16, v21, v16
	v_sub_u32_e32 v20, v9, v3
	v_mul_hi_u32 v18, v16, v7
	v_mul_lo_u32 v15, v20, s47
	v_mul_lo_u32 v17, v10, s37
	;; [unrolled: 1-line block ×4, first 2 shown]
	v_add_u32_e32 v13, s51, v13
	v_sub_u32_e32 v14, v14, v15
	v_add_u32_e32 v15, s48, v0
	v_sub_u32_e32 v22, v12, v13
	v_sub_u32_e32 v2, v2, v17
	;; [unrolled: 1-line block ×3, first 2 shown]
	v_add_u32_e32 v11, s50, v11
	v_sub_u32_e32 v12, 0, v22
	v_cmp_eq_u32_e32 vcc, 0, v14
	v_sub_u32_e32 v14, v15, v11
	v_add_u32_e32 v11, s50, v11
	v_max_i32_e32 v23, v22, v12
	v_sub_u32_e32 v11, v15, v11
	v_sub_u32_e32 v15, v16, v19
	v_mul_hi_u32 v24, v23, v7
	v_add_u32_e32 v16, 1, v18
	v_cmp_le_u32_e64 s[2:3], s82, v15
	v_cndmask_b32_e64 v16, v18, v16, s[2:3]
	v_subrev_u32_e32 v18, s82, v15
	v_cndmask_b32_e64 v15, v15, v18, s[2:3]
	v_cmp_le_u32_e64 s[2:3], s82, v15
	v_mul_lo_u32 v15, v24, s82
	v_add_u32_e32 v18, 1, v16
	v_cndmask_b32_e64 v13, v16, v18, s[2:3]
	v_add_u32_e32 v16, 1, v24
	v_sub_u32_e32 v15, v23, v15
	v_cmp_le_u32_e64 s[2:3], s82, v15
	v_subrev_u32_e32 v18, s82, v15
	v_ashrrev_i32_e32 v12, 31, v21
	v_cndmask_b32_e64 v16, v24, v16, s[2:3]
	v_cndmask_b32_e64 v15, v15, v18, s[2:3]
	v_xor_b32_e32 v12, s85, v12
	v_add_u32_e32 v18, 1, v16
	v_cmp_le_u32_e64 s[2:3], s82, v15
	v_xor_b32_e32 v13, v13, v12
	v_cndmask_b32_e64 v16, v16, v18, s[2:3]
	v_sub_u32_e32 v18, 0, v17
	v_sub_u32_e32 v19, v13, v12
	v_ashrrev_i32_e32 v15, 31, v22
	v_max_i32_e32 v23, v17, v18
	v_mul_lo_u32 v25, v19, s47
	v_xor_b32_e32 v15, s85, v15
	v_mul_hi_u32 v24, v23, v8
	v_xor_b32_e32 v16, v16, v15
	v_sub_u32_e32 v18, v16, v15
	v_mul_lo_u32 v26, v18, s47
	v_sub_u32_e32 v21, v21, v25
	v_mul_lo_u32 v25, v24, s83
	v_cmp_eq_u32_e64 s[2:3], 0, v21
	v_sub_u32_e32 v21, v22, v26
	v_cmp_eq_u32_e64 s[4:5], 0, v21
	v_sub_u32_e32 v21, v23, v25
	v_subrev_u32_e32 v22, s83, v21
	v_cmp_le_u32_e64 s[10:11], s83, v21
	v_cndmask_b32_e64 v21, v21, v22, s[10:11]
	v_subrev_u32_e32 v22, s83, v21
	v_cmp_le_u32_e64 s[14:15], s83, v21
	v_cndmask_b32_e64 v21, v21, v22, s[14:15]
	v_ashrrev_i32_e32 v22, 31, v17
	v_xor_b32_e32 v21, v21, v22
	v_sub_u32_e32 v21, v21, v22
	v_cmp_eq_u32_e64 s[6:7], 0, v21
	v_sub_u32_e32 v21, 0, v14
	v_max_i32_e32 v21, v14, v21
	v_mul_hi_u32 v23, v21, v8
	v_cmp_lt_i32_e64 s[8:9], -1, v20
	v_cmp_gt_i32_e64 s[12:13], s43, v20
	v_add_u32_e32 v20, 1, v24
	v_mul_lo_u32 v25, v23, s83
	v_cndmask_b32_e64 v20, v24, v20, s[10:11]
	v_add_u32_e32 v24, 1, v20
	v_cndmask_b32_e64 v24, v20, v24, s[14:15]
	v_sub_u32_e32 v20, v21, v25
	v_sub_u32_e32 v25, 0, v11
	v_max_i32_e32 v25, v11, v25
	v_mul_hi_u32 v26, v25, v8
	v_subrev_u32_e32 v21, s83, v20
	v_cmp_le_u32_e64 s[10:11], s83, v20
	v_cndmask_b32_e64 v20, v20, v21, s[10:11]
	v_subrev_u32_e32 v21, s83, v20
	v_cmp_le_u32_e64 s[14:15], s83, v20
	v_cndmask_b32_e64 v27, v20, v21, s[14:15]
	v_mul_lo_u32 v21, v26, s83
	v_add_u32_e32 v20, 1, v23
	v_cndmask_b32_e64 v20, v23, v20, s[10:11]
	v_add_u32_e32 v23, 1, v20
	v_cndmask_b32_e64 v28, v20, v23, s[14:15]
	v_sub_u32_e32 v20, v25, v21
	v_subrev_u32_e32 v21, s83, v20
	v_cmp_le_u32_e64 s[10:11], s83, v20
	v_cndmask_b32_e64 v20, v20, v21, s[10:11]
	v_subrev_u32_e32 v21, s83, v20
	v_cmp_le_u32_e64 s[14:15], s83, v20
	v_cndmask_b32_e64 v25, v20, v21, s[14:15]
	v_add_u32_e32 v20, 1, v26
	v_cndmask_b32_e64 v20, v26, v20, s[10:11]
	v_add_u32_e32 v21, 1, v20
	v_cndmask_b32_e64 v26, v20, v21, s[14:15]
	v_xor_b32_e32 v20, s86, v22
	v_xor_b32_e32 v21, v24, v20
	v_sub_u32_e32 v22, v21, v20
	v_mul_lo_u32 v23, v22, s46
	v_cmp_lt_i32_e64 s[14:15], -1, v22
	v_cmp_gt_i32_e64 s[16:17], s42, v22
	v_mul_lo_u32 v10, v10, s39
	v_sub_u32_e32 v22, v17, v23
	v_ashrrev_i32_e32 v17, 31, v14
	v_xor_b32_e32 v24, s86, v17
	v_xor_b32_e32 v23, v27, v17
	;; [unrolled: 1-line block ×3, first 2 shown]
	v_sub_u32_e32 v23, v23, v17
	v_sub_u32_e32 v17, v27, v24
	v_cmp_lt_i32_e64 s[18:19], -1, v17
	v_cmp_gt_i32_e64 s[20:21], s42, v17
	v_mul_lo_u32 v17, v17, s46
	v_cmp_lt_i32_e64 s[10:11], -1, v18
	v_cmp_gt_i32_e64 s[22:23], s43, v18
	s_and_b64 s[60:61], s[14:15], s[16:17]
	v_sub_u32_e32 v28, v14, v17
	v_mad_u64_u32 v[17:18], s[24:25], v2, s38, v[10:11]
	v_ashrrev_i32_e32 v14, 31, v11
	v_xor_b32_e32 v25, v25, v14
	v_mul_lo_u32 v10, s43, v17
	v_sub_u32_e32 v25, v25, v14
	v_xor_b32_e32 v14, s86, v14
	v_xor_b32_e32 v18, v26, v14
	v_sub_u32_e32 v17, v18, v14
	v_add_u32_e32 v16, v16, v10
	v_cmp_lt_i32_e64 s[24:25], -1, v17
	v_cmp_gt_i32_e64 s[26:27], s42, v17
	v_mul_lo_u32 v17, v17, s46
	v_sub_u32_e32 v15, v16, v15
	v_add_u32_e32 v13, v13, v10
	v_add_u32_e32 v9, v9, v10
	s_and_b64 s[62:63], s[18:19], s[20:21]
	s_and_b64 s[64:65], s[24:25], s[26:27]
	v_mul_lo_u32 v15, s42, v15
	v_sub_u32_e32 v12, v13, v12
	v_sub_u32_e32 v3, v9, v3
	s_and_b64 s[54:55], s[12:13], s[60:61]
	s_and_b64 s[56:57], s[12:13], s[62:63]
	;; [unrolled: 1-line block ×3, first 2 shown]
	v_cmp_gt_i32_e64 s[12:13], s43, v19
	v_mul_lo_u32 v16, s42, v12
	v_mul_lo_u32 v3, s42, v3
	s_and_b64 s[60:61], s[12:13], s[60:61]
	s_and_b64 s[62:63], s[12:13], s[62:63]
	;; [unrolled: 1-line block ×5, first 2 shown]
	v_sub_u32_e32 v11, v11, v17
	s_and_b64 s[12:13], s[20:21], s[22:23]
	s_and_b64 s[68:69], s[12:13], s[18:19]
	v_cmp_eq_u32_e64 s[12:13], 0, v11
	v_add_u32_e32 v11, v18, v15
	v_mul_lo_u32 v2, s88, v2
	v_add_u32_e32 v12, v18, v16
	v_sub_u32_e32 v9, v11, v14
	v_add_u32_e32 v11, v18, v3
	s_and_b64 s[14:15], s[26:27], s[22:23]
	v_add_u32_e32 v13, v27, v15
	v_sub_u32_e32 v10, v12, v14
	v_add_u32_e32 v17, v27, v16
	v_sub_u32_e32 v11, v11, v14
	v_add_u32_e32 v14, v27, v3
	v_add_u32_e32 v15, v21, v15
	v_add_u32_e32 v16, v21, v16
	v_add_u32_e32 v3, v21, v3
	v_sub_u32_e32 v12, v13, v24
	v_sub_u32_e32 v13, v17, v24
	s_and_b64 s[24:25], s[14:15], s[24:25]
	v_sub_u32_e32 v14, v14, v24
	v_sub_u32_e32 v15, v15, v20
	;; [unrolled: 1-line block ×4, first 2 shown]
	v_mov_b32_e32 v18, 0
	s_and_b64 s[26:27], s[12:13], s[10:11]
	v_cmp_eq_u32_e64 s[12:13], 0, v23
	v_cmp_eq_u32_e64 s[14:15], 0, v25
	v_cmp_lt_i32_e64 s[16:17], -1, v19
	v_cmp_eq_u32_e64 s[18:19], 0, v22
	v_cmp_eq_u32_e64 s[20:21], 0, v28
	s_branch .LBB45_9
.LBB45_6:                               ;   in Loop: Header=BB45_9 Depth=2
	s_or_b64 exec, exec, s[74:75]
.LBB45_7:                               ;   in Loop: Header=BB45_9 Depth=2
	s_or_b64 exec, exec, s[72:73]
.LBB45_8:                               ;   in Loop: Header=BB45_9 Depth=2
	s_or_b64 exec, exec, s[70:71]
	s_add_i32 s91, s91, -1
	s_add_i32 s90, s90, s89
	s_cmp_eq_u32 s91, 0
	v_add_u32_e32 v2, s87, v2
	s_cbranch_scc1 .LBB45_2
.LBB45_9:                               ;   Parent Loop BB45_4 Depth=1
                                        ; =>  This Inner Loop Header: Depth=2
	s_and_saveexec_b64 s[70:71], vcc
	s_cbranch_execnz .LBB45_18
; %bb.10:                               ;   in Loop: Header=BB45_9 Depth=2
	s_or_b64 exec, exec, s[70:71]
	s_and_saveexec_b64 s[70:71], vcc
	s_cbranch_execnz .LBB45_25
.LBB45_11:                              ;   in Loop: Header=BB45_9 Depth=2
	s_or_b64 exec, exec, s[70:71]
	s_and_saveexec_b64 s[70:71], vcc
	s_cbranch_execnz .LBB45_32
.LBB45_12:                              ;   in Loop: Header=BB45_9 Depth=2
	s_or_b64 exec, exec, s[70:71]
	s_and_saveexec_b64 s[70:71], s[2:3]
	s_cbranch_execnz .LBB45_39
.LBB45_13:                              ;   in Loop: Header=BB45_9 Depth=2
	s_or_b64 exec, exec, s[70:71]
	s_and_saveexec_b64 s[70:71], s[2:3]
	s_cbranch_execnz .LBB45_46
.LBB45_14:                              ;   in Loop: Header=BB45_9 Depth=2
	s_or_b64 exec, exec, s[70:71]
	s_and_saveexec_b64 s[70:71], s[2:3]
	s_cbranch_execnz .LBB45_53
.LBB45_15:                              ;   in Loop: Header=BB45_9 Depth=2
	s_or_b64 exec, exec, s[70:71]
	s_and_saveexec_b64 s[70:71], s[4:5]
	s_cbranch_execnz .LBB45_60
.LBB45_16:                              ;   in Loop: Header=BB45_9 Depth=2
	s_or_b64 exec, exec, s[70:71]
	s_and_saveexec_b64 s[70:71], s[4:5]
	s_cbranch_execnz .LBB45_67
.LBB45_17:                              ;   in Loop: Header=BB45_9 Depth=2
	s_or_b64 exec, exec, s[70:71]
	s_and_saveexec_b64 s[70:71], s[4:5]
	s_cbranch_execz .LBB45_8
	s_branch .LBB45_74
.LBB45_18:                              ;   in Loop: Header=BB45_9 Depth=2
	s_and_saveexec_b64 s[72:73], s[6:7]
	s_cbranch_execz .LBB45_24
; %bb.19:                               ;   in Loop: Header=BB45_9 Depth=2
	s_and_saveexec_b64 s[74:75], s[8:9]
	s_cbranch_execz .LBB45_23
; %bb.20:                               ;   in Loop: Header=BB45_9 Depth=2
	;; [unrolled: 3-line block ×3, first 2 shown]
	v_ashrrev_i32_e32 v3, 31, v2
	v_lshlrev_b64 v[20:21], 1, v[2:3]
	s_waitcnt lgkmcnt(0)
	v_mov_b32_e32 v3, s53
	v_add_co_u32_e64 v20, s[22:23], s52, v20
	v_add_u32_e32 v19, s90, v17
	v_addc_co_u32_e64 v21, s[22:23], v3, v21, s[22:23]
	global_load_ushort v3, v[20:21], off
	v_ashrrev_i32_e32 v20, 31, v19
	v_lshlrev_b64 v[19:20], 1, v[19:20]
	v_mov_b32_e32 v21, s31
	v_add_co_u32_e64 v19, s[22:23], s30, v19
	v_addc_co_u32_e64 v20, s[22:23], v21, v20, s[22:23]
	global_load_ushort v19, v[19:20], off
	s_waitcnt vmcnt(0)
	v_fma_mix_f32 v18, v3, v19, v18 op_sel_hi:[1,1,0]
.LBB45_22:                              ;   in Loop: Header=BB45_9 Depth=2
	s_or_b64 exec, exec, s[76:77]
.LBB45_23:                              ;   in Loop: Header=BB45_9 Depth=2
	s_or_b64 exec, exec, s[74:75]
.LBB45_24:                              ;   in Loop: Header=BB45_9 Depth=2
	s_or_b64 exec, exec, s[72:73]
	s_or_b64 exec, exec, s[70:71]
	s_and_saveexec_b64 s[70:71], vcc
	s_cbranch_execz .LBB45_11
.LBB45_25:                              ;   in Loop: Header=BB45_9 Depth=2
	s_and_saveexec_b64 s[72:73], s[12:13]
	s_cbranch_execz .LBB45_31
; %bb.26:                               ;   in Loop: Header=BB45_9 Depth=2
	s_and_saveexec_b64 s[74:75], s[8:9]
	s_cbranch_execz .LBB45_30
; %bb.27:                               ;   in Loop: Header=BB45_9 Depth=2
	;; [unrolled: 3-line block ×3, first 2 shown]
	v_ashrrev_i32_e32 v3, 31, v2
	v_lshlrev_b64 v[20:21], 1, v[2:3]
	s_waitcnt lgkmcnt(0)
	v_mov_b32_e32 v3, s53
	v_add_co_u32_e64 v20, s[22:23], s52, v20
	v_add_u32_e32 v19, s90, v14
	v_addc_co_u32_e64 v21, s[22:23], v3, v21, s[22:23]
	global_load_ushort v3, v[20:21], off offset:2
	v_ashrrev_i32_e32 v20, 31, v19
	v_lshlrev_b64 v[19:20], 1, v[19:20]
	v_mov_b32_e32 v21, s31
	v_add_co_u32_e64 v19, s[22:23], s30, v19
	v_addc_co_u32_e64 v20, s[22:23], v21, v20, s[22:23]
	global_load_ushort v19, v[19:20], off
	s_waitcnt vmcnt(0)
	v_fma_mix_f32 v18, v3, v19, v18 op_sel_hi:[1,1,0]
.LBB45_29:                              ;   in Loop: Header=BB45_9 Depth=2
	s_or_b64 exec, exec, s[76:77]
.LBB45_30:                              ;   in Loop: Header=BB45_9 Depth=2
	s_or_b64 exec, exec, s[74:75]
.LBB45_31:                              ;   in Loop: Header=BB45_9 Depth=2
	s_or_b64 exec, exec, s[72:73]
	s_or_b64 exec, exec, s[70:71]
	s_and_saveexec_b64 s[70:71], vcc
	s_cbranch_execz .LBB45_12
.LBB45_32:                              ;   in Loop: Header=BB45_9 Depth=2
	s_and_saveexec_b64 s[72:73], s[14:15]
	s_cbranch_execz .LBB45_38
; %bb.33:                               ;   in Loop: Header=BB45_9 Depth=2
	s_and_saveexec_b64 s[74:75], s[8:9]
	s_cbranch_execz .LBB45_37
; %bb.34:                               ;   in Loop: Header=BB45_9 Depth=2
	;; [unrolled: 3-line block ×3, first 2 shown]
	v_ashrrev_i32_e32 v3, 31, v2
	v_lshlrev_b64 v[20:21], 1, v[2:3]
	s_waitcnt lgkmcnt(0)
	v_mov_b32_e32 v3, s53
	v_add_co_u32_e64 v20, s[22:23], s52, v20
	v_add_u32_e32 v19, s90, v11
	v_addc_co_u32_e64 v21, s[22:23], v3, v21, s[22:23]
	global_load_ushort v3, v[20:21], off offset:4
	v_ashrrev_i32_e32 v20, 31, v19
	v_lshlrev_b64 v[19:20], 1, v[19:20]
	v_mov_b32_e32 v21, s31
	v_add_co_u32_e64 v19, s[22:23], s30, v19
	v_addc_co_u32_e64 v20, s[22:23], v21, v20, s[22:23]
	global_load_ushort v19, v[19:20], off
	s_waitcnt vmcnt(0)
	v_fma_mix_f32 v18, v3, v19, v18 op_sel_hi:[1,1,0]
.LBB45_36:                              ;   in Loop: Header=BB45_9 Depth=2
	s_or_b64 exec, exec, s[76:77]
.LBB45_37:                              ;   in Loop: Header=BB45_9 Depth=2
	s_or_b64 exec, exec, s[74:75]
.LBB45_38:                              ;   in Loop: Header=BB45_9 Depth=2
	s_or_b64 exec, exec, s[72:73]
	s_or_b64 exec, exec, s[70:71]
	s_and_saveexec_b64 s[70:71], s[2:3]
	s_cbranch_execz .LBB45_13
.LBB45_39:                              ;   in Loop: Header=BB45_9 Depth=2
	s_and_saveexec_b64 s[72:73], s[6:7]
	s_cbranch_execz .LBB45_45
; %bb.40:                               ;   in Loop: Header=BB45_9 Depth=2
	s_and_saveexec_b64 s[74:75], s[16:17]
	s_cbranch_execz .LBB45_44
; %bb.41:                               ;   in Loop: Header=BB45_9 Depth=2
	;; [unrolled: 3-line block ×3, first 2 shown]
	v_ashrrev_i32_e32 v3, 31, v2
	v_lshlrev_b64 v[20:21], 1, v[2:3]
	s_waitcnt lgkmcnt(0)
	v_mov_b32_e32 v3, s53
	v_add_co_u32_e64 v20, s[22:23], s52, v20
	v_add_u32_e32 v19, s90, v16
	v_addc_co_u32_e64 v21, s[22:23], v3, v21, s[22:23]
	global_load_ushort v3, v[20:21], off offset:6
	v_ashrrev_i32_e32 v20, 31, v19
	v_lshlrev_b64 v[19:20], 1, v[19:20]
	v_mov_b32_e32 v21, s31
	v_add_co_u32_e64 v19, s[22:23], s30, v19
	v_addc_co_u32_e64 v20, s[22:23], v21, v20, s[22:23]
	global_load_ushort v19, v[19:20], off
	s_waitcnt vmcnt(0)
	v_fma_mix_f32 v18, v3, v19, v18 op_sel_hi:[1,1,0]
.LBB45_43:                              ;   in Loop: Header=BB45_9 Depth=2
	s_or_b64 exec, exec, s[76:77]
.LBB45_44:                              ;   in Loop: Header=BB45_9 Depth=2
	s_or_b64 exec, exec, s[74:75]
.LBB45_45:                              ;   in Loop: Header=BB45_9 Depth=2
	s_or_b64 exec, exec, s[72:73]
	s_or_b64 exec, exec, s[70:71]
	s_and_saveexec_b64 s[70:71], s[2:3]
	s_cbranch_execz .LBB45_14
.LBB45_46:                              ;   in Loop: Header=BB45_9 Depth=2
	s_and_saveexec_b64 s[72:73], s[12:13]
	s_cbranch_execz .LBB45_52
; %bb.47:                               ;   in Loop: Header=BB45_9 Depth=2
	s_and_saveexec_b64 s[74:75], s[16:17]
	s_cbranch_execz .LBB45_51
; %bb.48:                               ;   in Loop: Header=BB45_9 Depth=2
	;; [unrolled: 3-line block ×3, first 2 shown]
	v_ashrrev_i32_e32 v3, 31, v2
	v_lshlrev_b64 v[20:21], 1, v[2:3]
	s_waitcnt lgkmcnt(0)
	v_mov_b32_e32 v3, s53
	v_add_co_u32_e64 v20, s[22:23], s52, v20
	v_add_u32_e32 v19, s90, v13
	v_addc_co_u32_e64 v21, s[22:23], v3, v21, s[22:23]
	global_load_ushort v3, v[20:21], off offset:8
	v_ashrrev_i32_e32 v20, 31, v19
	v_lshlrev_b64 v[19:20], 1, v[19:20]
	v_mov_b32_e32 v21, s31
	v_add_co_u32_e64 v19, s[22:23], s30, v19
	v_addc_co_u32_e64 v20, s[22:23], v21, v20, s[22:23]
	global_load_ushort v19, v[19:20], off
	s_waitcnt vmcnt(0)
	v_fma_mix_f32 v18, v3, v19, v18 op_sel_hi:[1,1,0]
.LBB45_50:                              ;   in Loop: Header=BB45_9 Depth=2
	s_or_b64 exec, exec, s[76:77]
.LBB45_51:                              ;   in Loop: Header=BB45_9 Depth=2
	s_or_b64 exec, exec, s[74:75]
.LBB45_52:                              ;   in Loop: Header=BB45_9 Depth=2
	s_or_b64 exec, exec, s[72:73]
	s_or_b64 exec, exec, s[70:71]
	s_and_saveexec_b64 s[70:71], s[2:3]
	s_cbranch_execz .LBB45_15
.LBB45_53:                              ;   in Loop: Header=BB45_9 Depth=2
	s_and_saveexec_b64 s[72:73], s[14:15]
	s_cbranch_execz .LBB45_59
; %bb.54:                               ;   in Loop: Header=BB45_9 Depth=2
	s_and_saveexec_b64 s[74:75], s[16:17]
	s_cbranch_execz .LBB45_58
; %bb.55:                               ;   in Loop: Header=BB45_9 Depth=2
	s_and_saveexec_b64 s[76:77], s[64:65]
	s_cbranch_execz .LBB45_57
; %bb.56:                               ;   in Loop: Header=BB45_9 Depth=2
	v_ashrrev_i32_e32 v3, 31, v2
	v_lshlrev_b64 v[20:21], 1, v[2:3]
	s_waitcnt lgkmcnt(0)
	v_mov_b32_e32 v3, s53
	v_add_co_u32_e64 v20, s[22:23], s52, v20
	v_add_u32_e32 v19, s90, v10
	v_addc_co_u32_e64 v21, s[22:23], v3, v21, s[22:23]
	global_load_ushort v3, v[20:21], off offset:10
	v_ashrrev_i32_e32 v20, 31, v19
	v_lshlrev_b64 v[19:20], 1, v[19:20]
	v_mov_b32_e32 v21, s31
	v_add_co_u32_e64 v19, s[22:23], s30, v19
	v_addc_co_u32_e64 v20, s[22:23], v21, v20, s[22:23]
	global_load_ushort v19, v[19:20], off
	s_waitcnt vmcnt(0)
	v_fma_mix_f32 v18, v3, v19, v18 op_sel_hi:[1,1,0]
.LBB45_57:                              ;   in Loop: Header=BB45_9 Depth=2
	s_or_b64 exec, exec, s[76:77]
.LBB45_58:                              ;   in Loop: Header=BB45_9 Depth=2
	s_or_b64 exec, exec, s[74:75]
.LBB45_59:                              ;   in Loop: Header=BB45_9 Depth=2
	s_or_b64 exec, exec, s[72:73]
	s_or_b64 exec, exec, s[70:71]
	s_and_saveexec_b64 s[70:71], s[4:5]
	s_cbranch_execz .LBB45_16
.LBB45_60:                              ;   in Loop: Header=BB45_9 Depth=2
	s_and_saveexec_b64 s[72:73], s[18:19]
	s_cbranch_execz .LBB45_66
; %bb.61:                               ;   in Loop: Header=BB45_9 Depth=2
	s_and_saveexec_b64 s[74:75], s[10:11]
	s_cbranch_execz .LBB45_65
; %bb.62:                               ;   in Loop: Header=BB45_9 Depth=2
	;; [unrolled: 3-line block ×3, first 2 shown]
	v_ashrrev_i32_e32 v3, 31, v2
	v_lshlrev_b64 v[20:21], 1, v[2:3]
	s_waitcnt lgkmcnt(0)
	v_mov_b32_e32 v3, s53
	v_add_co_u32_e64 v20, s[22:23], s52, v20
	v_add_u32_e32 v19, s90, v15
	v_addc_co_u32_e64 v21, s[22:23], v3, v21, s[22:23]
	global_load_ushort v3, v[20:21], off offset:12
	v_ashrrev_i32_e32 v20, 31, v19
	v_lshlrev_b64 v[19:20], 1, v[19:20]
	v_mov_b32_e32 v21, s31
	v_add_co_u32_e64 v19, s[22:23], s30, v19
	v_addc_co_u32_e64 v20, s[22:23], v21, v20, s[22:23]
	global_load_ushort v19, v[19:20], off
	s_waitcnt vmcnt(0)
	v_fma_mix_f32 v18, v3, v19, v18 op_sel_hi:[1,1,0]
.LBB45_64:                              ;   in Loop: Header=BB45_9 Depth=2
	s_or_b64 exec, exec, s[76:77]
.LBB45_65:                              ;   in Loop: Header=BB45_9 Depth=2
	s_or_b64 exec, exec, s[74:75]
.LBB45_66:                              ;   in Loop: Header=BB45_9 Depth=2
	s_or_b64 exec, exec, s[72:73]
	s_or_b64 exec, exec, s[70:71]
	s_and_saveexec_b64 s[70:71], s[4:5]
	s_cbranch_execz .LBB45_17
.LBB45_67:                              ;   in Loop: Header=BB45_9 Depth=2
	s_and_saveexec_b64 s[72:73], s[20:21]
	s_cbranch_execz .LBB45_73
; %bb.68:                               ;   in Loop: Header=BB45_9 Depth=2
	s_and_saveexec_b64 s[74:75], s[10:11]
	s_cbranch_execz .LBB45_72
; %bb.69:                               ;   in Loop: Header=BB45_9 Depth=2
	;; [unrolled: 3-line block ×3, first 2 shown]
	v_ashrrev_i32_e32 v3, 31, v2
	v_lshlrev_b64 v[20:21], 1, v[2:3]
	s_waitcnt lgkmcnt(0)
	v_mov_b32_e32 v3, s53
	v_add_co_u32_e64 v20, s[22:23], s52, v20
	v_add_u32_e32 v19, s90, v12
	v_addc_co_u32_e64 v21, s[22:23], v3, v21, s[22:23]
	global_load_ushort v3, v[20:21], off offset:14
	v_ashrrev_i32_e32 v20, 31, v19
	v_lshlrev_b64 v[19:20], 1, v[19:20]
	v_mov_b32_e32 v21, s31
	v_add_co_u32_e64 v19, s[22:23], s30, v19
	v_addc_co_u32_e64 v20, s[22:23], v21, v20, s[22:23]
	global_load_ushort v19, v[19:20], off
	s_waitcnt vmcnt(0)
	v_fma_mix_f32 v18, v3, v19, v18 op_sel_hi:[1,1,0]
.LBB45_71:                              ;   in Loop: Header=BB45_9 Depth=2
	s_or_b64 exec, exec, s[76:77]
.LBB45_72:                              ;   in Loop: Header=BB45_9 Depth=2
	s_or_b64 exec, exec, s[74:75]
.LBB45_73:                              ;   in Loop: Header=BB45_9 Depth=2
	s_or_b64 exec, exec, s[72:73]
	s_or_b64 exec, exec, s[70:71]
	s_and_saveexec_b64 s[70:71], s[4:5]
	s_cbranch_execz .LBB45_8
.LBB45_74:                              ;   in Loop: Header=BB45_9 Depth=2
	s_and_saveexec_b64 s[72:73], s[26:27]
	s_cbranch_execz .LBB45_7
; %bb.75:                               ;   in Loop: Header=BB45_9 Depth=2
	s_and_saveexec_b64 s[74:75], s[24:25]
	s_cbranch_execz .LBB45_6
; %bb.76:                               ;   in Loop: Header=BB45_9 Depth=2
	v_ashrrev_i32_e32 v3, 31, v2
	v_lshlrev_b64 v[20:21], 1, v[2:3]
	s_waitcnt lgkmcnt(0)
	v_mov_b32_e32 v3, s53
	v_add_co_u32_e64 v20, s[22:23], s52, v20
	v_add_u32_e32 v19, s90, v9
	v_addc_co_u32_e64 v21, s[22:23], v3, v21, s[22:23]
	global_load_ushort v3, v[20:21], off offset:16
	v_ashrrev_i32_e32 v20, 31, v19
	v_lshlrev_b64 v[19:20], 1, v[19:20]
	v_mov_b32_e32 v21, s31
	v_add_co_u32_e64 v19, s[22:23], s30, v19
	v_addc_co_u32_e64 v20, s[22:23], v21, v20, s[22:23]
	global_load_ushort v19, v[19:20], off
	s_waitcnt vmcnt(0)
	v_fma_mix_f32 v18, v3, v19, v18 op_sel_hi:[1,1,0]
	s_branch .LBB45_6
.LBB45_77:                              ;   in Loop: Header=BB45_4 Depth=1
	v_mov_b32_e32 v2, 0
	s_branch .LBB45_3
.LBB45_78:
	s_endpgm
	.section	.rodata,"a",@progbits
	.p2align	6, 0x0
	.amdhsa_kernel _ZN2at6native12_GLOBAL__N_132conv_depthwise2d_backward_kernelILi3ELi0EN3c104HalfEiEEvN5torch10headeronly6detail27GenericPackedTensorAccessorINS7_14TensorAccessorINS3_8ArrayRefIlEEKT1_Lm3ENS6_16DefaultPtrTraitsEiEENS_6detail16IndexBoundsCheckILm4EiEESD_Lm4ESE_iEENS8_INS9_ISB_SC_Lm3ESE_iEESI_SC_Lm4ESE_iEESJ_T2_iiiiiiiiiiiiiii
		.amdhsa_group_segment_fixed_size 0
		.amdhsa_private_segment_fixed_size 0
		.amdhsa_kernarg_size 440
		.amdhsa_user_sgpr_count 6
		.amdhsa_user_sgpr_private_segment_buffer 1
		.amdhsa_user_sgpr_dispatch_ptr 0
		.amdhsa_user_sgpr_queue_ptr 0
		.amdhsa_user_sgpr_kernarg_segment_ptr 1
		.amdhsa_user_sgpr_dispatch_id 0
		.amdhsa_user_sgpr_flat_scratch_init 0
		.amdhsa_user_sgpr_private_segment_size 0
		.amdhsa_uses_dynamic_stack 0
		.amdhsa_system_sgpr_private_segment_wavefront_offset 0
		.amdhsa_system_sgpr_workgroup_id_x 1
		.amdhsa_system_sgpr_workgroup_id_y 0
		.amdhsa_system_sgpr_workgroup_id_z 0
		.amdhsa_system_sgpr_workgroup_info 0
		.amdhsa_system_vgpr_workitem_id 0
		.amdhsa_next_free_vgpr 29
		.amdhsa_next_free_sgpr 92
		.amdhsa_reserve_vcc 1
		.amdhsa_reserve_flat_scratch 0
		.amdhsa_float_round_mode_32 0
		.amdhsa_float_round_mode_16_64 0
		.amdhsa_float_denorm_mode_32 3
		.amdhsa_float_denorm_mode_16_64 3
		.amdhsa_dx10_clamp 1
		.amdhsa_ieee_mode 1
		.amdhsa_fp16_overflow 0
		.amdhsa_exception_fp_ieee_invalid_op 0
		.amdhsa_exception_fp_denorm_src 0
		.amdhsa_exception_fp_ieee_div_zero 0
		.amdhsa_exception_fp_ieee_overflow 0
		.amdhsa_exception_fp_ieee_underflow 0
		.amdhsa_exception_fp_ieee_inexact 0
		.amdhsa_exception_int_div_zero 0
	.end_amdhsa_kernel
	.section	.text._ZN2at6native12_GLOBAL__N_132conv_depthwise2d_backward_kernelILi3ELi0EN3c104HalfEiEEvN5torch10headeronly6detail27GenericPackedTensorAccessorINS7_14TensorAccessorINS3_8ArrayRefIlEEKT1_Lm3ENS6_16DefaultPtrTraitsEiEENS_6detail16IndexBoundsCheckILm4EiEESD_Lm4ESE_iEENS8_INS9_ISB_SC_Lm3ESE_iEESI_SC_Lm4ESE_iEESJ_T2_iiiiiiiiiiiiiii,"axG",@progbits,_ZN2at6native12_GLOBAL__N_132conv_depthwise2d_backward_kernelILi3ELi0EN3c104HalfEiEEvN5torch10headeronly6detail27GenericPackedTensorAccessorINS7_14TensorAccessorINS3_8ArrayRefIlEEKT1_Lm3ENS6_16DefaultPtrTraitsEiEENS_6detail16IndexBoundsCheckILm4EiEESD_Lm4ESE_iEENS8_INS9_ISB_SC_Lm3ESE_iEESI_SC_Lm4ESE_iEESJ_T2_iiiiiiiiiiiiiii,comdat
.Lfunc_end45:
	.size	_ZN2at6native12_GLOBAL__N_132conv_depthwise2d_backward_kernelILi3ELi0EN3c104HalfEiEEvN5torch10headeronly6detail27GenericPackedTensorAccessorINS7_14TensorAccessorINS3_8ArrayRefIlEEKT1_Lm3ENS6_16DefaultPtrTraitsEiEENS_6detail16IndexBoundsCheckILm4EiEESD_Lm4ESE_iEENS8_INS9_ISB_SC_Lm3ESE_iEESI_SC_Lm4ESE_iEESJ_T2_iiiiiiiiiiiiiii, .Lfunc_end45-_ZN2at6native12_GLOBAL__N_132conv_depthwise2d_backward_kernelILi3ELi0EN3c104HalfEiEEvN5torch10headeronly6detail27GenericPackedTensorAccessorINS7_14TensorAccessorINS3_8ArrayRefIlEEKT1_Lm3ENS6_16DefaultPtrTraitsEiEENS_6detail16IndexBoundsCheckILm4EiEESD_Lm4ESE_iEENS8_INS9_ISB_SC_Lm3ESE_iEESI_SC_Lm4ESE_iEESJ_T2_iiiiiiiiiiiiiii
                                        ; -- End function
	.set _ZN2at6native12_GLOBAL__N_132conv_depthwise2d_backward_kernelILi3ELi0EN3c104HalfEiEEvN5torch10headeronly6detail27GenericPackedTensorAccessorINS7_14TensorAccessorINS3_8ArrayRefIlEEKT1_Lm3ENS6_16DefaultPtrTraitsEiEENS_6detail16IndexBoundsCheckILm4EiEESD_Lm4ESE_iEENS8_INS9_ISB_SC_Lm3ESE_iEESI_SC_Lm4ESE_iEESJ_T2_iiiiiiiiiiiiiii.num_vgpr, 29
	.set _ZN2at6native12_GLOBAL__N_132conv_depthwise2d_backward_kernelILi3ELi0EN3c104HalfEiEEvN5torch10headeronly6detail27GenericPackedTensorAccessorINS7_14TensorAccessorINS3_8ArrayRefIlEEKT1_Lm3ENS6_16DefaultPtrTraitsEiEENS_6detail16IndexBoundsCheckILm4EiEESD_Lm4ESE_iEENS8_INS9_ISB_SC_Lm3ESE_iEESI_SC_Lm4ESE_iEESJ_T2_iiiiiiiiiiiiiii.num_agpr, 0
	.set _ZN2at6native12_GLOBAL__N_132conv_depthwise2d_backward_kernelILi3ELi0EN3c104HalfEiEEvN5torch10headeronly6detail27GenericPackedTensorAccessorINS7_14TensorAccessorINS3_8ArrayRefIlEEKT1_Lm3ENS6_16DefaultPtrTraitsEiEENS_6detail16IndexBoundsCheckILm4EiEESD_Lm4ESE_iEENS8_INS9_ISB_SC_Lm3ESE_iEESI_SC_Lm4ESE_iEESJ_T2_iiiiiiiiiiiiiii.numbered_sgpr, 92
	.set _ZN2at6native12_GLOBAL__N_132conv_depthwise2d_backward_kernelILi3ELi0EN3c104HalfEiEEvN5torch10headeronly6detail27GenericPackedTensorAccessorINS7_14TensorAccessorINS3_8ArrayRefIlEEKT1_Lm3ENS6_16DefaultPtrTraitsEiEENS_6detail16IndexBoundsCheckILm4EiEESD_Lm4ESE_iEENS8_INS9_ISB_SC_Lm3ESE_iEESI_SC_Lm4ESE_iEESJ_T2_iiiiiiiiiiiiiii.num_named_barrier, 0
	.set _ZN2at6native12_GLOBAL__N_132conv_depthwise2d_backward_kernelILi3ELi0EN3c104HalfEiEEvN5torch10headeronly6detail27GenericPackedTensorAccessorINS7_14TensorAccessorINS3_8ArrayRefIlEEKT1_Lm3ENS6_16DefaultPtrTraitsEiEENS_6detail16IndexBoundsCheckILm4EiEESD_Lm4ESE_iEENS8_INS9_ISB_SC_Lm3ESE_iEESI_SC_Lm4ESE_iEESJ_T2_iiiiiiiiiiiiiii.private_seg_size, 0
	.set _ZN2at6native12_GLOBAL__N_132conv_depthwise2d_backward_kernelILi3ELi0EN3c104HalfEiEEvN5torch10headeronly6detail27GenericPackedTensorAccessorINS7_14TensorAccessorINS3_8ArrayRefIlEEKT1_Lm3ENS6_16DefaultPtrTraitsEiEENS_6detail16IndexBoundsCheckILm4EiEESD_Lm4ESE_iEENS8_INS9_ISB_SC_Lm3ESE_iEESI_SC_Lm4ESE_iEESJ_T2_iiiiiiiiiiiiiii.uses_vcc, 1
	.set _ZN2at6native12_GLOBAL__N_132conv_depthwise2d_backward_kernelILi3ELi0EN3c104HalfEiEEvN5torch10headeronly6detail27GenericPackedTensorAccessorINS7_14TensorAccessorINS3_8ArrayRefIlEEKT1_Lm3ENS6_16DefaultPtrTraitsEiEENS_6detail16IndexBoundsCheckILm4EiEESD_Lm4ESE_iEENS8_INS9_ISB_SC_Lm3ESE_iEESI_SC_Lm4ESE_iEESJ_T2_iiiiiiiiiiiiiii.uses_flat_scratch, 0
	.set _ZN2at6native12_GLOBAL__N_132conv_depthwise2d_backward_kernelILi3ELi0EN3c104HalfEiEEvN5torch10headeronly6detail27GenericPackedTensorAccessorINS7_14TensorAccessorINS3_8ArrayRefIlEEKT1_Lm3ENS6_16DefaultPtrTraitsEiEENS_6detail16IndexBoundsCheckILm4EiEESD_Lm4ESE_iEENS8_INS9_ISB_SC_Lm3ESE_iEESI_SC_Lm4ESE_iEESJ_T2_iiiiiiiiiiiiiii.has_dyn_sized_stack, 0
	.set _ZN2at6native12_GLOBAL__N_132conv_depthwise2d_backward_kernelILi3ELi0EN3c104HalfEiEEvN5torch10headeronly6detail27GenericPackedTensorAccessorINS7_14TensorAccessorINS3_8ArrayRefIlEEKT1_Lm3ENS6_16DefaultPtrTraitsEiEENS_6detail16IndexBoundsCheckILm4EiEESD_Lm4ESE_iEENS8_INS9_ISB_SC_Lm3ESE_iEESI_SC_Lm4ESE_iEESJ_T2_iiiiiiiiiiiiiii.has_recursion, 0
	.set _ZN2at6native12_GLOBAL__N_132conv_depthwise2d_backward_kernelILi3ELi0EN3c104HalfEiEEvN5torch10headeronly6detail27GenericPackedTensorAccessorINS7_14TensorAccessorINS3_8ArrayRefIlEEKT1_Lm3ENS6_16DefaultPtrTraitsEiEENS_6detail16IndexBoundsCheckILm4EiEESD_Lm4ESE_iEENS8_INS9_ISB_SC_Lm3ESE_iEESI_SC_Lm4ESE_iEESJ_T2_iiiiiiiiiiiiiii.has_indirect_call, 0
	.section	.AMDGPU.csdata,"",@progbits
; Kernel info:
; codeLenInByte = 3340
; TotalNumSgprs: 96
; NumVgprs: 29
; ScratchSize: 0
; MemoryBound: 0
; FloatMode: 240
; IeeeMode: 1
; LDSByteSize: 0 bytes/workgroup (compile time only)
; SGPRBlocks: 11
; VGPRBlocks: 7
; NumSGPRsForWavesPerEU: 96
; NumVGPRsForWavesPerEU: 29
; Occupancy: 8
; WaveLimiterHint : 0
; COMPUTE_PGM_RSRC2:SCRATCH_EN: 0
; COMPUTE_PGM_RSRC2:USER_SGPR: 6
; COMPUTE_PGM_RSRC2:TRAP_HANDLER: 0
; COMPUTE_PGM_RSRC2:TGID_X_EN: 1
; COMPUTE_PGM_RSRC2:TGID_Y_EN: 0
; COMPUTE_PGM_RSRC2:TGID_Z_EN: 0
; COMPUTE_PGM_RSRC2:TIDIG_COMP_CNT: 0
	.section	.text._ZN2at6native12_GLOBAL__N_132conv_depthwise2d_backward_kernelILi1ELi1EN3c104HalfEiEEvN5torch10headeronly6detail27GenericPackedTensorAccessorINS7_14TensorAccessorINS3_8ArrayRefIlEEKT1_Lm3ENS6_16DefaultPtrTraitsEiEENS_6detail16IndexBoundsCheckILm4EiEESD_Lm4ESE_iEENS8_INS9_ISB_SC_Lm3ESE_iEESI_SC_Lm4ESE_iEESJ_T2_iiiiiiiiiiiiiii,"axG",@progbits,_ZN2at6native12_GLOBAL__N_132conv_depthwise2d_backward_kernelILi1ELi1EN3c104HalfEiEEvN5torch10headeronly6detail27GenericPackedTensorAccessorINS7_14TensorAccessorINS3_8ArrayRefIlEEKT1_Lm3ENS6_16DefaultPtrTraitsEiEENS_6detail16IndexBoundsCheckILm4EiEESD_Lm4ESE_iEENS8_INS9_ISB_SC_Lm3ESE_iEESI_SC_Lm4ESE_iEESJ_T2_iiiiiiiiiiiiiii,comdat
	.globl	_ZN2at6native12_GLOBAL__N_132conv_depthwise2d_backward_kernelILi1ELi1EN3c104HalfEiEEvN5torch10headeronly6detail27GenericPackedTensorAccessorINS7_14TensorAccessorINS3_8ArrayRefIlEEKT1_Lm3ENS6_16DefaultPtrTraitsEiEENS_6detail16IndexBoundsCheckILm4EiEESD_Lm4ESE_iEENS8_INS9_ISB_SC_Lm3ESE_iEESI_SC_Lm4ESE_iEESJ_T2_iiiiiiiiiiiiiii ; -- Begin function _ZN2at6native12_GLOBAL__N_132conv_depthwise2d_backward_kernelILi1ELi1EN3c104HalfEiEEvN5torch10headeronly6detail27GenericPackedTensorAccessorINS7_14TensorAccessorINS3_8ArrayRefIlEEKT1_Lm3ENS6_16DefaultPtrTraitsEiEENS_6detail16IndexBoundsCheckILm4EiEESD_Lm4ESE_iEENS8_INS9_ISB_SC_Lm3ESE_iEESI_SC_Lm4ESE_iEESJ_T2_iiiiiiiiiiiiiii
	.p2align	8
	.type	_ZN2at6native12_GLOBAL__N_132conv_depthwise2d_backward_kernelILi1ELi1EN3c104HalfEiEEvN5torch10headeronly6detail27GenericPackedTensorAccessorINS7_14TensorAccessorINS3_8ArrayRefIlEEKT1_Lm3ENS6_16DefaultPtrTraitsEiEENS_6detail16IndexBoundsCheckILm4EiEESD_Lm4ESE_iEENS8_INS9_ISB_SC_Lm3ESE_iEESI_SC_Lm4ESE_iEESJ_T2_iiiiiiiiiiiiiii,@function
_ZN2at6native12_GLOBAL__N_132conv_depthwise2d_backward_kernelILi1ELi1EN3c104HalfEiEEvN5torch10headeronly6detail27GenericPackedTensorAccessorINS7_14TensorAccessorINS3_8ArrayRefIlEEKT1_Lm3ENS6_16DefaultPtrTraitsEiEENS_6detail16IndexBoundsCheckILm4EiEESD_Lm4ESE_iEENS8_INS9_ISB_SC_Lm3ESE_iEESI_SC_Lm4ESE_iEESJ_T2_iiiiiiiiiiiiiii: ; @_ZN2at6native12_GLOBAL__N_132conv_depthwise2d_backward_kernelILi1ELi1EN3c104HalfEiEEvN5torch10headeronly6detail27GenericPackedTensorAccessorINS7_14TensorAccessorINS3_8ArrayRefIlEEKT1_Lm3ENS6_16DefaultPtrTraitsEiEENS_6detail16IndexBoundsCheckILm4EiEESD_Lm4ESE_iEENS8_INS9_ISB_SC_Lm3ESE_iEESI_SC_Lm4ESE_iEESJ_T2_iiiiiiiiiiiiiii
; %bb.0:
	s_load_dword s2, s[4:5], 0xc4
	s_load_dwordx8 s[8:15], s[4:5], 0x78
	s_add_u32 s0, s4, 0xb8
	s_addc_u32 s1, s5, 0
	v_mov_b32_e32 v1, 0
	s_waitcnt lgkmcnt(0)
	s_and_b32 s2, s2, 0xffff
	v_mov_b32_e32 v2, s6
	v_mad_u64_u32 v[1:2], s[16:17], s2, v2, v[0:1]
	s_ashr_i32 s17, s8, 31
	s_mov_b32 s16, s8
	v_cmp_gt_i64_e32 vcc, s[16:17], v[1:2]
	s_and_saveexec_b64 s[18:19], vcc
	s_cbranch_execz .LBB46_10
; %bb.1:
	s_cmp_gt_i32 s10, 0
	s_cselect_b64 s[38:39], -1, 0
	s_abs_i32 s8, s12
	v_cvt_f32_u32_e32 v3, s8
	s_abs_i32 s28, s13
	v_cvt_f32_u32_e32 v4, s28
	s_abs_i32 s29, s9
	v_rcp_iflag_f32_e32 v3, v3
	v_cvt_f32_u32_e32 v5, s29
	v_rcp_iflag_f32_e32 v4, v4
	s_load_dwordx2 s[26:27], s[4:5], 0x98
	s_load_dwordx2 s[20:21], s[4:5], 0x0
	s_load_dwordx2 s[22:23], s[4:5], 0x28
	s_load_dwordx2 s[24:25], s[4:5], 0x50
	s_load_dword s3, s[0:1], 0x0
	v_mul_f32_e32 v3, 0x4f7ffffe, v3
	v_rcp_iflag_f32_e32 v5, v5
	v_cvt_u32_f32_e32 v3, v3
	v_mul_f32_e32 v4, 0x4f7ffffe, v4
	s_sub_i32 s0, 0, s8
	v_cvt_u32_f32_e32 v4, v4
	v_mul_f32_e32 v5, 0x4f7ffffe, v5
	v_mul_lo_u32 v6, s0, v3
	v_cvt_u32_f32_e32 v5, v5
	s_sub_i32 s0, 0, s28
	v_mul_lo_u32 v7, s0, v4
	s_sub_i32 s0, 0, s29
	v_mul_hi_u32 v6, v3, v6
	v_mul_lo_u32 v8, s0, v5
	s_load_dwordx2 s[18:19], s[4:5], 0xa8
	v_mul_hi_u32 v9, v4, v7
	v_add_u32_e32 v7, v3, v6
	v_mul_hi_u32 v3, v5, v8
	s_mul_i32 s0, s6, s2
	v_add_u32_e32 v8, v4, v9
	s_waitcnt lgkmcnt(0)
	s_mul_i32 s35, s27, s26
	v_add_u32_e32 v9, v5, v3
	s_add_i32 s0, s0, s18
	v_cndmask_b32_e64 v3, 0, 1, s[38:39]
	s_mul_i32 s30, s3, s2
	s_ashr_i32 s31, s12, 31
	s_ashr_i32 s33, s13, 31
	;; [unrolled: 1-line block ×3, first 2 shown]
	s_mul_i32 s36, s35, s10
	v_add_u32_e32 v0, s0, v0
	s_mul_i32 s37, s15, s14
	s_mov_b64 s[26:27], 0
	v_cmp_ne_u32_e64 s[0:1], 1, v3
	s_branch .LBB46_4
.LBB46_2:                               ;   in Loop: Header=BB46_4 Depth=1
	v_cvt_f16_f32_e32 v3, v10
.LBB46_3:                               ;   in Loop: Header=BB46_4 Depth=1
	v_lshlrev_b64 v[4:5], 1, v[1:2]
	v_mov_b32_e32 v6, s23
	v_add_co_u32_e32 v4, vcc, s22, v4
	v_addc_co_u32_e32 v5, vcc, v6, v5, vcc
	v_add_co_u32_e32 v1, vcc, s30, v1
	v_addc_co_u32_e32 v2, vcc, 0, v2, vcc
	v_cmp_le_i64_e32 vcc, s[16:17], v[1:2]
	v_add_u32_e32 v0, s30, v0
	s_or_b64 s[26:27], vcc, s[26:27]
	global_store_short v[4:5], v3, off
	s_andn2_b64 exec, exec, s[26:27]
	s_cbranch_execz .LBB46_10
.LBB46_4:                               ; =>This Loop Header: Depth=1
                                        ;     Child Loop BB46_7 Depth 2
	s_and_b64 vcc, exec, s[0:1]
	s_cbranch_vccnz .LBB46_9
; %bb.5:                                ;   in Loop: Header=BB46_4 Depth=1
	v_sub_u32_e32 v3, 0, v1
	v_max_i32_e32 v3, v1, v3
	v_mul_hi_u32 v4, v3, v7
	v_ashrrev_i32_e32 v6, 31, v1
	v_xor_b32_e32 v6, s31, v6
	v_mul_lo_u32 v5, v4, s8
	v_add_u32_e32 v10, 1, v4
	v_sub_u32_e32 v3, v3, v5
	v_cmp_le_u32_e32 vcc, s8, v3
	v_subrev_u32_e32 v5, s8, v3
	v_cndmask_b32_e32 v4, v4, v10, vcc
	v_cndmask_b32_e32 v3, v3, v5, vcc
	v_add_u32_e32 v5, 1, v4
	v_cmp_le_u32_e32 vcc, s8, v3
	v_cndmask_b32_e32 v3, v4, v5, vcc
	v_xor_b32_e32 v5, v3, v6
	v_sub_u32_e32 v3, v5, v6
	v_sub_u32_e32 v4, 0, v3
	v_max_i32_e32 v4, v3, v4
	v_mul_hi_u32 v10, v4, v8
	v_ashrrev_i32_e32 v12, 31, v3
	v_xor_b32_e32 v12, s33, v12
	v_mul_lo_u32 v11, v10, s28
	v_add_u32_e32 v13, 1, v10
	v_sub_u32_e32 v4, v4, v11
	v_cmp_le_u32_e32 vcc, s28, v4
	v_subrev_u32_e32 v11, s28, v4
	v_cndmask_b32_e32 v10, v10, v13, vcc
	v_cndmask_b32_e32 v4, v4, v11, vcc
	v_add_u32_e32 v11, 1, v10
	v_cmp_le_u32_e32 vcc, s28, v4
	v_cndmask_b32_e32 v4, v10, v11, vcc
	v_xor_b32_e32 v4, v4, v12
	v_sub_u32_e32 v4, v4, v12
	;; [unrolled: 17-line block ×3, first 2 shown]
	v_mul_lo_u32 v11, v10, s9
	v_mul_lo_u32 v12, v4, s13
	;; [unrolled: 1-line block ×3, first 2 shown]
	v_sub_u32_e32 v11, v4, v11
	v_sub_u32_e32 v4, v3, v12
	v_mul_lo_u32 v3, v10, s11
	v_add_u32_e32 v14, s19, v4
	v_sub_u32_e32 v10, v1, v13
	v_cmp_gt_i32_e32 vcc, 0, v14
	v_mad_u64_u32 v[3:4], s[2:3], v11, s10, v[3:4]
	v_add_u32_e32 v4, s18, v10
	v_cmp_gt_i32_e64 s[4:5], 0, v4
	v_mul_lo_u32 v3, s15, v3
	v_cmp_le_i32_e64 s[6:7], s14, v4
	s_or_b64 s[4:5], s[4:5], s[6:7]
	v_cmp_le_i32_e64 s[2:3], s15, v14
	v_add3_u32 v3, s19, v5, v3
	v_sub_u32_e32 v3, v3, v12
	v_sub_u32_e32 v3, v3, v6
	v_mad_u64_u32 v[4:5], s[6:7], s14, v3, v[0:1]
	v_mul_lo_u32 v3, s36, v11
	s_or_b64 s[2:3], vcc, s[2:3]
	s_nor_b64 s[2:3], s[2:3], s[4:5]
	v_sub_u32_e32 v5, v4, v13
	v_mov_b32_e32 v10, 0
	s_mov_b32 s6, s10
	s_branch .LBB46_7
.LBB46_6:                               ;   in Loop: Header=BB46_7 Depth=2
	s_or_b64 exec, exec, s[4:5]
	s_add_i32 s6, s6, -1
	v_add_u32_e32 v3, s35, v3
	s_cmp_eq_u32 s6, 0
	v_add_u32_e32 v5, s37, v5
	s_cbranch_scc1 .LBB46_2
.LBB46_7:                               ;   Parent Loop BB46_4 Depth=1
                                        ; =>  This Inner Loop Header: Depth=2
	s_and_saveexec_b64 s[4:5], s[2:3]
	s_cbranch_execz .LBB46_6
; %bb.8:                                ;   in Loop: Header=BB46_7 Depth=2
	v_ashrrev_i32_e32 v6, 31, v5
	v_lshlrev_b64 v[11:12], 1, v[5:6]
	v_mov_b32_e32 v4, s21
	v_add_co_u32_e32 v11, vcc, s20, v11
	v_addc_co_u32_e32 v12, vcc, v4, v12, vcc
	v_ashrrev_i32_e32 v4, 31, v3
	v_lshlrev_b64 v[13:14], 1, v[3:4]
	v_mov_b32_e32 v4, s25
	v_add_co_u32_e32 v13, vcc, s24, v13
	v_addc_co_u32_e32 v14, vcc, v4, v14, vcc
	global_load_ushort v4, v[13:14], off
	global_load_ushort v6, v[11:12], off
	s_waitcnt vmcnt(0)
	v_fma_mix_f32 v10, v4, v6, v10 op_sel_hi:[1,1,0]
	s_branch .LBB46_6
.LBB46_9:                               ;   in Loop: Header=BB46_4 Depth=1
	v_mov_b32_e32 v3, 0
	s_branch .LBB46_3
.LBB46_10:
	s_endpgm
	.section	.rodata,"a",@progbits
	.p2align	6, 0x0
	.amdhsa_kernel _ZN2at6native12_GLOBAL__N_132conv_depthwise2d_backward_kernelILi1ELi1EN3c104HalfEiEEvN5torch10headeronly6detail27GenericPackedTensorAccessorINS7_14TensorAccessorINS3_8ArrayRefIlEEKT1_Lm3ENS6_16DefaultPtrTraitsEiEENS_6detail16IndexBoundsCheckILm4EiEESD_Lm4ESE_iEENS8_INS9_ISB_SC_Lm3ESE_iEESI_SC_Lm4ESE_iEESJ_T2_iiiiiiiiiiiiiii
		.amdhsa_group_segment_fixed_size 0
		.amdhsa_private_segment_fixed_size 0
		.amdhsa_kernarg_size 440
		.amdhsa_user_sgpr_count 6
		.amdhsa_user_sgpr_private_segment_buffer 1
		.amdhsa_user_sgpr_dispatch_ptr 0
		.amdhsa_user_sgpr_queue_ptr 0
		.amdhsa_user_sgpr_kernarg_segment_ptr 1
		.amdhsa_user_sgpr_dispatch_id 0
		.amdhsa_user_sgpr_flat_scratch_init 0
		.amdhsa_user_sgpr_private_segment_size 0
		.amdhsa_uses_dynamic_stack 0
		.amdhsa_system_sgpr_private_segment_wavefront_offset 0
		.amdhsa_system_sgpr_workgroup_id_x 1
		.amdhsa_system_sgpr_workgroup_id_y 0
		.amdhsa_system_sgpr_workgroup_id_z 0
		.amdhsa_system_sgpr_workgroup_info 0
		.amdhsa_system_vgpr_workitem_id 0
		.amdhsa_next_free_vgpr 15
		.amdhsa_next_free_sgpr 40
		.amdhsa_reserve_vcc 1
		.amdhsa_reserve_flat_scratch 0
		.amdhsa_float_round_mode_32 0
		.amdhsa_float_round_mode_16_64 0
		.amdhsa_float_denorm_mode_32 3
		.amdhsa_float_denorm_mode_16_64 3
		.amdhsa_dx10_clamp 1
		.amdhsa_ieee_mode 1
		.amdhsa_fp16_overflow 0
		.amdhsa_exception_fp_ieee_invalid_op 0
		.amdhsa_exception_fp_denorm_src 0
		.amdhsa_exception_fp_ieee_div_zero 0
		.amdhsa_exception_fp_ieee_overflow 0
		.amdhsa_exception_fp_ieee_underflow 0
		.amdhsa_exception_fp_ieee_inexact 0
		.amdhsa_exception_int_div_zero 0
	.end_amdhsa_kernel
	.section	.text._ZN2at6native12_GLOBAL__N_132conv_depthwise2d_backward_kernelILi1ELi1EN3c104HalfEiEEvN5torch10headeronly6detail27GenericPackedTensorAccessorINS7_14TensorAccessorINS3_8ArrayRefIlEEKT1_Lm3ENS6_16DefaultPtrTraitsEiEENS_6detail16IndexBoundsCheckILm4EiEESD_Lm4ESE_iEENS8_INS9_ISB_SC_Lm3ESE_iEESI_SC_Lm4ESE_iEESJ_T2_iiiiiiiiiiiiiii,"axG",@progbits,_ZN2at6native12_GLOBAL__N_132conv_depthwise2d_backward_kernelILi1ELi1EN3c104HalfEiEEvN5torch10headeronly6detail27GenericPackedTensorAccessorINS7_14TensorAccessorINS3_8ArrayRefIlEEKT1_Lm3ENS6_16DefaultPtrTraitsEiEENS_6detail16IndexBoundsCheckILm4EiEESD_Lm4ESE_iEENS8_INS9_ISB_SC_Lm3ESE_iEESI_SC_Lm4ESE_iEESJ_T2_iiiiiiiiiiiiiii,comdat
.Lfunc_end46:
	.size	_ZN2at6native12_GLOBAL__N_132conv_depthwise2d_backward_kernelILi1ELi1EN3c104HalfEiEEvN5torch10headeronly6detail27GenericPackedTensorAccessorINS7_14TensorAccessorINS3_8ArrayRefIlEEKT1_Lm3ENS6_16DefaultPtrTraitsEiEENS_6detail16IndexBoundsCheckILm4EiEESD_Lm4ESE_iEENS8_INS9_ISB_SC_Lm3ESE_iEESI_SC_Lm4ESE_iEESJ_T2_iiiiiiiiiiiiiii, .Lfunc_end46-_ZN2at6native12_GLOBAL__N_132conv_depthwise2d_backward_kernelILi1ELi1EN3c104HalfEiEEvN5torch10headeronly6detail27GenericPackedTensorAccessorINS7_14TensorAccessorINS3_8ArrayRefIlEEKT1_Lm3ENS6_16DefaultPtrTraitsEiEENS_6detail16IndexBoundsCheckILm4EiEESD_Lm4ESE_iEENS8_INS9_ISB_SC_Lm3ESE_iEESI_SC_Lm4ESE_iEESJ_T2_iiiiiiiiiiiiiii
                                        ; -- End function
	.set _ZN2at6native12_GLOBAL__N_132conv_depthwise2d_backward_kernelILi1ELi1EN3c104HalfEiEEvN5torch10headeronly6detail27GenericPackedTensorAccessorINS7_14TensorAccessorINS3_8ArrayRefIlEEKT1_Lm3ENS6_16DefaultPtrTraitsEiEENS_6detail16IndexBoundsCheckILm4EiEESD_Lm4ESE_iEENS8_INS9_ISB_SC_Lm3ESE_iEESI_SC_Lm4ESE_iEESJ_T2_iiiiiiiiiiiiiii.num_vgpr, 15
	.set _ZN2at6native12_GLOBAL__N_132conv_depthwise2d_backward_kernelILi1ELi1EN3c104HalfEiEEvN5torch10headeronly6detail27GenericPackedTensorAccessorINS7_14TensorAccessorINS3_8ArrayRefIlEEKT1_Lm3ENS6_16DefaultPtrTraitsEiEENS_6detail16IndexBoundsCheckILm4EiEESD_Lm4ESE_iEENS8_INS9_ISB_SC_Lm3ESE_iEESI_SC_Lm4ESE_iEESJ_T2_iiiiiiiiiiiiiii.num_agpr, 0
	.set _ZN2at6native12_GLOBAL__N_132conv_depthwise2d_backward_kernelILi1ELi1EN3c104HalfEiEEvN5torch10headeronly6detail27GenericPackedTensorAccessorINS7_14TensorAccessorINS3_8ArrayRefIlEEKT1_Lm3ENS6_16DefaultPtrTraitsEiEENS_6detail16IndexBoundsCheckILm4EiEESD_Lm4ESE_iEENS8_INS9_ISB_SC_Lm3ESE_iEESI_SC_Lm4ESE_iEESJ_T2_iiiiiiiiiiiiiii.numbered_sgpr, 40
	.set _ZN2at6native12_GLOBAL__N_132conv_depthwise2d_backward_kernelILi1ELi1EN3c104HalfEiEEvN5torch10headeronly6detail27GenericPackedTensorAccessorINS7_14TensorAccessorINS3_8ArrayRefIlEEKT1_Lm3ENS6_16DefaultPtrTraitsEiEENS_6detail16IndexBoundsCheckILm4EiEESD_Lm4ESE_iEENS8_INS9_ISB_SC_Lm3ESE_iEESI_SC_Lm4ESE_iEESJ_T2_iiiiiiiiiiiiiii.num_named_barrier, 0
	.set _ZN2at6native12_GLOBAL__N_132conv_depthwise2d_backward_kernelILi1ELi1EN3c104HalfEiEEvN5torch10headeronly6detail27GenericPackedTensorAccessorINS7_14TensorAccessorINS3_8ArrayRefIlEEKT1_Lm3ENS6_16DefaultPtrTraitsEiEENS_6detail16IndexBoundsCheckILm4EiEESD_Lm4ESE_iEENS8_INS9_ISB_SC_Lm3ESE_iEESI_SC_Lm4ESE_iEESJ_T2_iiiiiiiiiiiiiii.private_seg_size, 0
	.set _ZN2at6native12_GLOBAL__N_132conv_depthwise2d_backward_kernelILi1ELi1EN3c104HalfEiEEvN5torch10headeronly6detail27GenericPackedTensorAccessorINS7_14TensorAccessorINS3_8ArrayRefIlEEKT1_Lm3ENS6_16DefaultPtrTraitsEiEENS_6detail16IndexBoundsCheckILm4EiEESD_Lm4ESE_iEENS8_INS9_ISB_SC_Lm3ESE_iEESI_SC_Lm4ESE_iEESJ_T2_iiiiiiiiiiiiiii.uses_vcc, 1
	.set _ZN2at6native12_GLOBAL__N_132conv_depthwise2d_backward_kernelILi1ELi1EN3c104HalfEiEEvN5torch10headeronly6detail27GenericPackedTensorAccessorINS7_14TensorAccessorINS3_8ArrayRefIlEEKT1_Lm3ENS6_16DefaultPtrTraitsEiEENS_6detail16IndexBoundsCheckILm4EiEESD_Lm4ESE_iEENS8_INS9_ISB_SC_Lm3ESE_iEESI_SC_Lm4ESE_iEESJ_T2_iiiiiiiiiiiiiii.uses_flat_scratch, 0
	.set _ZN2at6native12_GLOBAL__N_132conv_depthwise2d_backward_kernelILi1ELi1EN3c104HalfEiEEvN5torch10headeronly6detail27GenericPackedTensorAccessorINS7_14TensorAccessorINS3_8ArrayRefIlEEKT1_Lm3ENS6_16DefaultPtrTraitsEiEENS_6detail16IndexBoundsCheckILm4EiEESD_Lm4ESE_iEENS8_INS9_ISB_SC_Lm3ESE_iEESI_SC_Lm4ESE_iEESJ_T2_iiiiiiiiiiiiiii.has_dyn_sized_stack, 0
	.set _ZN2at6native12_GLOBAL__N_132conv_depthwise2d_backward_kernelILi1ELi1EN3c104HalfEiEEvN5torch10headeronly6detail27GenericPackedTensorAccessorINS7_14TensorAccessorINS3_8ArrayRefIlEEKT1_Lm3ENS6_16DefaultPtrTraitsEiEENS_6detail16IndexBoundsCheckILm4EiEESD_Lm4ESE_iEENS8_INS9_ISB_SC_Lm3ESE_iEESI_SC_Lm4ESE_iEESJ_T2_iiiiiiiiiiiiiii.has_recursion, 0
	.set _ZN2at6native12_GLOBAL__N_132conv_depthwise2d_backward_kernelILi1ELi1EN3c104HalfEiEEvN5torch10headeronly6detail27GenericPackedTensorAccessorINS7_14TensorAccessorINS3_8ArrayRefIlEEKT1_Lm3ENS6_16DefaultPtrTraitsEiEENS_6detail16IndexBoundsCheckILm4EiEESD_Lm4ESE_iEENS8_INS9_ISB_SC_Lm3ESE_iEESI_SC_Lm4ESE_iEESJ_T2_iiiiiiiiiiiiiii.has_indirect_call, 0
	.section	.AMDGPU.csdata,"",@progbits
; Kernel info:
; codeLenInByte = 920
; TotalNumSgprs: 44
; NumVgprs: 15
; ScratchSize: 0
; MemoryBound: 0
; FloatMode: 240
; IeeeMode: 1
; LDSByteSize: 0 bytes/workgroup (compile time only)
; SGPRBlocks: 5
; VGPRBlocks: 3
; NumSGPRsForWavesPerEU: 44
; NumVGPRsForWavesPerEU: 15
; Occupancy: 10
; WaveLimiterHint : 0
; COMPUTE_PGM_RSRC2:SCRATCH_EN: 0
; COMPUTE_PGM_RSRC2:USER_SGPR: 6
; COMPUTE_PGM_RSRC2:TRAP_HANDLER: 0
; COMPUTE_PGM_RSRC2:TGID_X_EN: 1
; COMPUTE_PGM_RSRC2:TGID_Y_EN: 0
; COMPUTE_PGM_RSRC2:TGID_Z_EN: 0
; COMPUTE_PGM_RSRC2:TIDIG_COMP_CNT: 0
	.section	.text._ZN2at6native12_GLOBAL__N_132conv_depthwise2d_backward_kernelILi1ELi2EN3c104HalfEiEEvN5torch10headeronly6detail27GenericPackedTensorAccessorINS7_14TensorAccessorINS3_8ArrayRefIlEEKT1_Lm3ENS6_16DefaultPtrTraitsEiEENS_6detail16IndexBoundsCheckILm4EiEESD_Lm4ESE_iEENS8_INS9_ISB_SC_Lm3ESE_iEESI_SC_Lm4ESE_iEESJ_T2_iiiiiiiiiiiiiii,"axG",@progbits,_ZN2at6native12_GLOBAL__N_132conv_depthwise2d_backward_kernelILi1ELi2EN3c104HalfEiEEvN5torch10headeronly6detail27GenericPackedTensorAccessorINS7_14TensorAccessorINS3_8ArrayRefIlEEKT1_Lm3ENS6_16DefaultPtrTraitsEiEENS_6detail16IndexBoundsCheckILm4EiEESD_Lm4ESE_iEENS8_INS9_ISB_SC_Lm3ESE_iEESI_SC_Lm4ESE_iEESJ_T2_iiiiiiiiiiiiiii,comdat
	.globl	_ZN2at6native12_GLOBAL__N_132conv_depthwise2d_backward_kernelILi1ELi2EN3c104HalfEiEEvN5torch10headeronly6detail27GenericPackedTensorAccessorINS7_14TensorAccessorINS3_8ArrayRefIlEEKT1_Lm3ENS6_16DefaultPtrTraitsEiEENS_6detail16IndexBoundsCheckILm4EiEESD_Lm4ESE_iEENS8_INS9_ISB_SC_Lm3ESE_iEESI_SC_Lm4ESE_iEESJ_T2_iiiiiiiiiiiiiii ; -- Begin function _ZN2at6native12_GLOBAL__N_132conv_depthwise2d_backward_kernelILi1ELi2EN3c104HalfEiEEvN5torch10headeronly6detail27GenericPackedTensorAccessorINS7_14TensorAccessorINS3_8ArrayRefIlEEKT1_Lm3ENS6_16DefaultPtrTraitsEiEENS_6detail16IndexBoundsCheckILm4EiEESD_Lm4ESE_iEENS8_INS9_ISB_SC_Lm3ESE_iEESI_SC_Lm4ESE_iEESJ_T2_iiiiiiiiiiiiiii
	.p2align	8
	.type	_ZN2at6native12_GLOBAL__N_132conv_depthwise2d_backward_kernelILi1ELi2EN3c104HalfEiEEvN5torch10headeronly6detail27GenericPackedTensorAccessorINS7_14TensorAccessorINS3_8ArrayRefIlEEKT1_Lm3ENS6_16DefaultPtrTraitsEiEENS_6detail16IndexBoundsCheckILm4EiEESD_Lm4ESE_iEENS8_INS9_ISB_SC_Lm3ESE_iEESI_SC_Lm4ESE_iEESJ_T2_iiiiiiiiiiiiiii,@function
_ZN2at6native12_GLOBAL__N_132conv_depthwise2d_backward_kernelILi1ELi2EN3c104HalfEiEEvN5torch10headeronly6detail27GenericPackedTensorAccessorINS7_14TensorAccessorINS3_8ArrayRefIlEEKT1_Lm3ENS6_16DefaultPtrTraitsEiEENS_6detail16IndexBoundsCheckILm4EiEESD_Lm4ESE_iEENS8_INS9_ISB_SC_Lm3ESE_iEESI_SC_Lm4ESE_iEESJ_T2_iiiiiiiiiiiiiii: ; @_ZN2at6native12_GLOBAL__N_132conv_depthwise2d_backward_kernelILi1ELi2EN3c104HalfEiEEvN5torch10headeronly6detail27GenericPackedTensorAccessorINS7_14TensorAccessorINS3_8ArrayRefIlEEKT1_Lm3ENS6_16DefaultPtrTraitsEiEENS_6detail16IndexBoundsCheckILm4EiEESD_Lm4ESE_iEENS8_INS9_ISB_SC_Lm3ESE_iEESI_SC_Lm4ESE_iEESJ_T2_iiiiiiiiiiiiiii
; %bb.0:
	s_load_dword s2, s[4:5], 0xc4
	s_load_dwordx8 s[12:19], s[4:5], 0x78
	s_add_u32 s0, s4, 0xb8
	s_addc_u32 s1, s5, 0
	v_mov_b32_e32 v1, 0
	s_waitcnt lgkmcnt(0)
	s_and_b32 s2, s2, 0xffff
	v_mov_b32_e32 v2, s6
	v_mad_u64_u32 v[0:1], s[6:7], s2, v2, v[0:1]
	s_ashr_i32 s11, s12, 31
	s_mov_b32 s10, s12
	v_cmp_gt_i64_e32 vcc, s[10:11], v[0:1]
	s_and_saveexec_b64 s[6:7], vcc
	s_cbranch_execz .LBB47_10
; %bb.1:
	s_cmp_gt_i32 s14, 0
	s_cselect_b64 s[6:7], -1, 0
	s_abs_i32 s12, s16
	v_cvt_f32_u32_e32 v2, s12
	s_abs_i32 s30, s17
	v_cvt_f32_u32_e32 v3, s30
	s_abs_i32 s31, s13
	v_rcp_iflag_f32_e32 v2, v2
	v_cvt_f32_u32_e32 v4, s31
	v_rcp_iflag_f32_e32 v3, v3
	s_load_dwordx2 s[8:9], s[4:5], 0x98
	s_load_dwordx2 s[22:23], s[4:5], 0x0
	;; [unrolled: 1-line block ×4, first 2 shown]
	s_load_dword s3, s[0:1], 0x0
	v_mul_f32_e32 v2, 0x4f7ffffe, v2
	v_rcp_iflag_f32_e32 v4, v4
	v_cvt_u32_f32_e32 v2, v2
	v_mul_f32_e32 v3, 0x4f7ffffe, v3
	s_sub_i32 s0, 0, s12
	v_cvt_u32_f32_e32 v3, v3
	v_mul_f32_e32 v4, 0x4f7ffffe, v4
	v_mul_lo_u32 v5, s0, v2
	v_cvt_u32_f32_e32 v4, v4
	s_sub_i32 s0, 0, s30
	v_mul_lo_u32 v6, s0, v3
	s_sub_i32 s0, 0, s31
	v_mul_hi_u32 v5, v2, v5
	v_mul_lo_u32 v7, s0, v4
	v_mul_hi_u32 v8, v3, v6
	s_load_dwordx2 s[20:21], s[4:5], 0xa8
	v_add_u32_e32 v6, v2, v5
	v_mul_hi_u32 v2, v4, v7
	v_add_u32_e32 v7, v3, v8
	s_waitcnt lgkmcnt(0)
	s_mul_i32 s37, s9, s8
	s_mul_i32 s33, s3, s2
	v_add_u32_e32 v8, v4, v2
	v_cndmask_b32_e64 v2, 0, 1, s[6:7]
	s_ashr_i32 s34, s16, 31
	s_ashr_i32 s35, s17, 31
	s_ashr_i32 s36, s13, 31
	s_mul_i32 s38, s37, s14
	s_mul_i32 s39, s19, s18
	s_mov_b64 s[28:29], 0
	v_cmp_ne_u32_e64 s[0:1], 1, v2
	s_branch .LBB47_4
.LBB47_2:                               ;   in Loop: Header=BB47_4 Depth=1
	v_cvt_f16_f32_e32 v2, v9
.LBB47_3:                               ;   in Loop: Header=BB47_4 Depth=1
	v_lshlrev_b64 v[3:4], 1, v[0:1]
	v_add_co_u32_e32 v0, vcc, s33, v0
	v_addc_co_u32_e32 v1, vcc, 0, v1, vcc
	v_cmp_le_i64_e32 vcc, s[10:11], v[0:1]
	v_mov_b32_e32 v5, s25
	v_add_co_u32_e64 v3, s[2:3], s24, v3
	v_addc_co_u32_e64 v4, s[2:3], v5, v4, s[2:3]
	s_or_b64 s[28:29], vcc, s[28:29]
	global_store_short v[3:4], v2, off
	s_andn2_b64 exec, exec, s[28:29]
	s_cbranch_execz .LBB47_10
.LBB47_4:                               ; =>This Loop Header: Depth=1
                                        ;     Child Loop BB47_7 Depth 2
	s_and_b64 vcc, exec, s[0:1]
	s_cbranch_vccnz .LBB47_9
; %bb.5:                                ;   in Loop: Header=BB47_4 Depth=1
	v_sub_u32_e32 v2, 0, v0
	v_max_i32_e32 v2, v0, v2
	v_mul_hi_u32 v3, v2, v6
	v_ashrrev_i32_e32 v5, 31, v0
	v_xor_b32_e32 v5, s34, v5
	v_mul_lo_u32 v4, v3, s12
	v_add_u32_e32 v9, 1, v3
	v_sub_u32_e32 v2, v2, v4
	v_cmp_le_u32_e32 vcc, s12, v2
	v_subrev_u32_e32 v4, s12, v2
	v_cndmask_b32_e32 v3, v3, v9, vcc
	v_cndmask_b32_e32 v2, v2, v4, vcc
	v_add_u32_e32 v4, 1, v3
	v_cmp_le_u32_e32 vcc, s12, v2
	v_cndmask_b32_e32 v2, v3, v4, vcc
	v_xor_b32_e32 v2, v2, v5
	v_sub_u32_e32 v2, v2, v5
	v_sub_u32_e32 v3, 0, v2
	v_max_i32_e32 v3, v2, v3
	v_mul_hi_u32 v4, v3, v7
	v_ashrrev_i32_e32 v9, 31, v2
	v_xor_b32_e32 v9, s35, v9
	v_mul_lo_u32 v5, v4, s30
	v_add_u32_e32 v10, 1, v4
	v_sub_u32_e32 v3, v3, v5
	v_cmp_le_u32_e32 vcc, s30, v3
	v_subrev_u32_e32 v5, s30, v3
	v_cndmask_b32_e32 v4, v4, v10, vcc
	v_cndmask_b32_e32 v3, v3, v5, vcc
	v_add_u32_e32 v5, 1, v4
	v_cmp_le_u32_e32 vcc, s30, v3
	v_cndmask_b32_e32 v3, v4, v5, vcc
	v_xor_b32_e32 v3, v3, v9
	v_sub_u32_e32 v3, v3, v9
	;; [unrolled: 17-line block ×3, first 2 shown]
	v_mul_lo_u32 v5, v4, s13
	v_mul_lo_u32 v9, v3, s17
	;; [unrolled: 1-line block ×4, first 2 shown]
	v_sub_u32_e32 v11, v3, v5
	v_sub_u32_e32 v2, v2, v9
	;; [unrolled: 1-line block ×3, first 2 shown]
	v_add_u32_e32 v2, s21, v2
	v_add_u32_e32 v3, s20, v3
	v_or_b32_e32 v5, v2, v3
	v_and_b32_e32 v5, 1, v5
	v_cmp_eq_u32_e32 vcc, 1, v5
	v_mad_u64_u32 v[4:5], s[40:41], v11, s14, v[4:5]
	v_ashrrev_i32_e32 v2, 1, v2
	v_ashrrev_i32_e32 v3, 1, v3
	v_cmp_gt_i32_e64 s[2:3], 0, v2
	v_cmp_le_i32_e64 s[4:5], s19, v2
	s_or_b64 s[2:3], s[2:3], s[4:5]
	v_mad_u64_u32 v[4:5], s[4:5], s19, v4, v[2:3]
	v_mul_lo_u32 v2, s38, v11
	v_cmp_gt_i32_e64 s[6:7], 0, v3
	v_mad_u64_u32 v[4:5], s[4:5], s18, v4, v[3:4]
	v_cmp_le_i32_e64 s[8:9], s18, v3
	s_or_b64 s[6:7], s[6:7], s[8:9]
	s_or_b64 s[2:3], vcc, s[2:3]
	s_nor_b64 s[2:3], s[2:3], s[6:7]
	v_mov_b32_e32 v9, 0
	s_mov_b32 s6, s14
	s_branch .LBB47_7
.LBB47_6:                               ;   in Loop: Header=BB47_7 Depth=2
	s_or_b64 exec, exec, s[4:5]
	s_add_i32 s6, s6, -1
	v_add_u32_e32 v2, s37, v2
	s_cmp_eq_u32 s6, 0
	v_add_u32_e32 v4, s39, v4
	s_cbranch_scc1 .LBB47_2
.LBB47_7:                               ;   Parent Loop BB47_4 Depth=1
                                        ; =>  This Inner Loop Header: Depth=2
	s_and_saveexec_b64 s[4:5], s[2:3]
	s_cbranch_execz .LBB47_6
; %bb.8:                                ;   in Loop: Header=BB47_7 Depth=2
	v_ashrrev_i32_e32 v5, 31, v4
	v_lshlrev_b64 v[10:11], 1, v[4:5]
	v_mov_b32_e32 v3, s23
	v_add_co_u32_e32 v10, vcc, s22, v10
	v_addc_co_u32_e32 v11, vcc, v3, v11, vcc
	v_ashrrev_i32_e32 v3, 31, v2
	v_lshlrev_b64 v[12:13], 1, v[2:3]
	v_mov_b32_e32 v3, s27
	v_add_co_u32_e32 v12, vcc, s26, v12
	v_addc_co_u32_e32 v13, vcc, v3, v13, vcc
	global_load_ushort v3, v[12:13], off
	global_load_ushort v5, v[10:11], off
	s_waitcnt vmcnt(0)
	v_fma_mix_f32 v9, v3, v5, v9 op_sel_hi:[1,1,0]
	s_branch .LBB47_6
.LBB47_9:                               ;   in Loop: Header=BB47_4 Depth=1
	v_mov_b32_e32 v2, 0
	s_branch .LBB47_3
.LBB47_10:
	s_endpgm
	.section	.rodata,"a",@progbits
	.p2align	6, 0x0
	.amdhsa_kernel _ZN2at6native12_GLOBAL__N_132conv_depthwise2d_backward_kernelILi1ELi2EN3c104HalfEiEEvN5torch10headeronly6detail27GenericPackedTensorAccessorINS7_14TensorAccessorINS3_8ArrayRefIlEEKT1_Lm3ENS6_16DefaultPtrTraitsEiEENS_6detail16IndexBoundsCheckILm4EiEESD_Lm4ESE_iEENS8_INS9_ISB_SC_Lm3ESE_iEESI_SC_Lm4ESE_iEESJ_T2_iiiiiiiiiiiiiii
		.amdhsa_group_segment_fixed_size 0
		.amdhsa_private_segment_fixed_size 0
		.amdhsa_kernarg_size 440
		.amdhsa_user_sgpr_count 6
		.amdhsa_user_sgpr_private_segment_buffer 1
		.amdhsa_user_sgpr_dispatch_ptr 0
		.amdhsa_user_sgpr_queue_ptr 0
		.amdhsa_user_sgpr_kernarg_segment_ptr 1
		.amdhsa_user_sgpr_dispatch_id 0
		.amdhsa_user_sgpr_flat_scratch_init 0
		.amdhsa_user_sgpr_private_segment_size 0
		.amdhsa_uses_dynamic_stack 0
		.amdhsa_system_sgpr_private_segment_wavefront_offset 0
		.amdhsa_system_sgpr_workgroup_id_x 1
		.amdhsa_system_sgpr_workgroup_id_y 0
		.amdhsa_system_sgpr_workgroup_id_z 0
		.amdhsa_system_sgpr_workgroup_info 0
		.amdhsa_system_vgpr_workitem_id 0
		.amdhsa_next_free_vgpr 14
		.amdhsa_next_free_sgpr 42
		.amdhsa_reserve_vcc 1
		.amdhsa_reserve_flat_scratch 0
		.amdhsa_float_round_mode_32 0
		.amdhsa_float_round_mode_16_64 0
		.amdhsa_float_denorm_mode_32 3
		.amdhsa_float_denorm_mode_16_64 3
		.amdhsa_dx10_clamp 1
		.amdhsa_ieee_mode 1
		.amdhsa_fp16_overflow 0
		.amdhsa_exception_fp_ieee_invalid_op 0
		.amdhsa_exception_fp_denorm_src 0
		.amdhsa_exception_fp_ieee_div_zero 0
		.amdhsa_exception_fp_ieee_overflow 0
		.amdhsa_exception_fp_ieee_underflow 0
		.amdhsa_exception_fp_ieee_inexact 0
		.amdhsa_exception_int_div_zero 0
	.end_amdhsa_kernel
	.section	.text._ZN2at6native12_GLOBAL__N_132conv_depthwise2d_backward_kernelILi1ELi2EN3c104HalfEiEEvN5torch10headeronly6detail27GenericPackedTensorAccessorINS7_14TensorAccessorINS3_8ArrayRefIlEEKT1_Lm3ENS6_16DefaultPtrTraitsEiEENS_6detail16IndexBoundsCheckILm4EiEESD_Lm4ESE_iEENS8_INS9_ISB_SC_Lm3ESE_iEESI_SC_Lm4ESE_iEESJ_T2_iiiiiiiiiiiiiii,"axG",@progbits,_ZN2at6native12_GLOBAL__N_132conv_depthwise2d_backward_kernelILi1ELi2EN3c104HalfEiEEvN5torch10headeronly6detail27GenericPackedTensorAccessorINS7_14TensorAccessorINS3_8ArrayRefIlEEKT1_Lm3ENS6_16DefaultPtrTraitsEiEENS_6detail16IndexBoundsCheckILm4EiEESD_Lm4ESE_iEENS8_INS9_ISB_SC_Lm3ESE_iEESI_SC_Lm4ESE_iEESJ_T2_iiiiiiiiiiiiiii,comdat
.Lfunc_end47:
	.size	_ZN2at6native12_GLOBAL__N_132conv_depthwise2d_backward_kernelILi1ELi2EN3c104HalfEiEEvN5torch10headeronly6detail27GenericPackedTensorAccessorINS7_14TensorAccessorINS3_8ArrayRefIlEEKT1_Lm3ENS6_16DefaultPtrTraitsEiEENS_6detail16IndexBoundsCheckILm4EiEESD_Lm4ESE_iEENS8_INS9_ISB_SC_Lm3ESE_iEESI_SC_Lm4ESE_iEESJ_T2_iiiiiiiiiiiiiii, .Lfunc_end47-_ZN2at6native12_GLOBAL__N_132conv_depthwise2d_backward_kernelILi1ELi2EN3c104HalfEiEEvN5torch10headeronly6detail27GenericPackedTensorAccessorINS7_14TensorAccessorINS3_8ArrayRefIlEEKT1_Lm3ENS6_16DefaultPtrTraitsEiEENS_6detail16IndexBoundsCheckILm4EiEESD_Lm4ESE_iEENS8_INS9_ISB_SC_Lm3ESE_iEESI_SC_Lm4ESE_iEESJ_T2_iiiiiiiiiiiiiii
                                        ; -- End function
	.set _ZN2at6native12_GLOBAL__N_132conv_depthwise2d_backward_kernelILi1ELi2EN3c104HalfEiEEvN5torch10headeronly6detail27GenericPackedTensorAccessorINS7_14TensorAccessorINS3_8ArrayRefIlEEKT1_Lm3ENS6_16DefaultPtrTraitsEiEENS_6detail16IndexBoundsCheckILm4EiEESD_Lm4ESE_iEENS8_INS9_ISB_SC_Lm3ESE_iEESI_SC_Lm4ESE_iEESJ_T2_iiiiiiiiiiiiiii.num_vgpr, 14
	.set _ZN2at6native12_GLOBAL__N_132conv_depthwise2d_backward_kernelILi1ELi2EN3c104HalfEiEEvN5torch10headeronly6detail27GenericPackedTensorAccessorINS7_14TensorAccessorINS3_8ArrayRefIlEEKT1_Lm3ENS6_16DefaultPtrTraitsEiEENS_6detail16IndexBoundsCheckILm4EiEESD_Lm4ESE_iEENS8_INS9_ISB_SC_Lm3ESE_iEESI_SC_Lm4ESE_iEESJ_T2_iiiiiiiiiiiiiii.num_agpr, 0
	.set _ZN2at6native12_GLOBAL__N_132conv_depthwise2d_backward_kernelILi1ELi2EN3c104HalfEiEEvN5torch10headeronly6detail27GenericPackedTensorAccessorINS7_14TensorAccessorINS3_8ArrayRefIlEEKT1_Lm3ENS6_16DefaultPtrTraitsEiEENS_6detail16IndexBoundsCheckILm4EiEESD_Lm4ESE_iEENS8_INS9_ISB_SC_Lm3ESE_iEESI_SC_Lm4ESE_iEESJ_T2_iiiiiiiiiiiiiii.numbered_sgpr, 42
	.set _ZN2at6native12_GLOBAL__N_132conv_depthwise2d_backward_kernelILi1ELi2EN3c104HalfEiEEvN5torch10headeronly6detail27GenericPackedTensorAccessorINS7_14TensorAccessorINS3_8ArrayRefIlEEKT1_Lm3ENS6_16DefaultPtrTraitsEiEENS_6detail16IndexBoundsCheckILm4EiEESD_Lm4ESE_iEENS8_INS9_ISB_SC_Lm3ESE_iEESI_SC_Lm4ESE_iEESJ_T2_iiiiiiiiiiiiiii.num_named_barrier, 0
	.set _ZN2at6native12_GLOBAL__N_132conv_depthwise2d_backward_kernelILi1ELi2EN3c104HalfEiEEvN5torch10headeronly6detail27GenericPackedTensorAccessorINS7_14TensorAccessorINS3_8ArrayRefIlEEKT1_Lm3ENS6_16DefaultPtrTraitsEiEENS_6detail16IndexBoundsCheckILm4EiEESD_Lm4ESE_iEENS8_INS9_ISB_SC_Lm3ESE_iEESI_SC_Lm4ESE_iEESJ_T2_iiiiiiiiiiiiiii.private_seg_size, 0
	.set _ZN2at6native12_GLOBAL__N_132conv_depthwise2d_backward_kernelILi1ELi2EN3c104HalfEiEEvN5torch10headeronly6detail27GenericPackedTensorAccessorINS7_14TensorAccessorINS3_8ArrayRefIlEEKT1_Lm3ENS6_16DefaultPtrTraitsEiEENS_6detail16IndexBoundsCheckILm4EiEESD_Lm4ESE_iEENS8_INS9_ISB_SC_Lm3ESE_iEESI_SC_Lm4ESE_iEESJ_T2_iiiiiiiiiiiiiii.uses_vcc, 1
	.set _ZN2at6native12_GLOBAL__N_132conv_depthwise2d_backward_kernelILi1ELi2EN3c104HalfEiEEvN5torch10headeronly6detail27GenericPackedTensorAccessorINS7_14TensorAccessorINS3_8ArrayRefIlEEKT1_Lm3ENS6_16DefaultPtrTraitsEiEENS_6detail16IndexBoundsCheckILm4EiEESD_Lm4ESE_iEENS8_INS9_ISB_SC_Lm3ESE_iEESI_SC_Lm4ESE_iEESJ_T2_iiiiiiiiiiiiiii.uses_flat_scratch, 0
	.set _ZN2at6native12_GLOBAL__N_132conv_depthwise2d_backward_kernelILi1ELi2EN3c104HalfEiEEvN5torch10headeronly6detail27GenericPackedTensorAccessorINS7_14TensorAccessorINS3_8ArrayRefIlEEKT1_Lm3ENS6_16DefaultPtrTraitsEiEENS_6detail16IndexBoundsCheckILm4EiEESD_Lm4ESE_iEENS8_INS9_ISB_SC_Lm3ESE_iEESI_SC_Lm4ESE_iEESJ_T2_iiiiiiiiiiiiiii.has_dyn_sized_stack, 0
	.set _ZN2at6native12_GLOBAL__N_132conv_depthwise2d_backward_kernelILi1ELi2EN3c104HalfEiEEvN5torch10headeronly6detail27GenericPackedTensorAccessorINS7_14TensorAccessorINS3_8ArrayRefIlEEKT1_Lm3ENS6_16DefaultPtrTraitsEiEENS_6detail16IndexBoundsCheckILm4EiEESD_Lm4ESE_iEENS8_INS9_ISB_SC_Lm3ESE_iEESI_SC_Lm4ESE_iEESJ_T2_iiiiiiiiiiiiiii.has_recursion, 0
	.set _ZN2at6native12_GLOBAL__N_132conv_depthwise2d_backward_kernelILi1ELi2EN3c104HalfEiEEvN5torch10headeronly6detail27GenericPackedTensorAccessorINS7_14TensorAccessorINS3_8ArrayRefIlEEKT1_Lm3ENS6_16DefaultPtrTraitsEiEENS_6detail16IndexBoundsCheckILm4EiEESD_Lm4ESE_iEENS8_INS9_ISB_SC_Lm3ESE_iEESI_SC_Lm4ESE_iEESJ_T2_iiiiiiiiiiiiiii.has_indirect_call, 0
	.section	.AMDGPU.csdata,"",@progbits
; Kernel info:
; codeLenInByte = 920
; TotalNumSgprs: 46
; NumVgprs: 14
; ScratchSize: 0
; MemoryBound: 0
; FloatMode: 240
; IeeeMode: 1
; LDSByteSize: 0 bytes/workgroup (compile time only)
; SGPRBlocks: 5
; VGPRBlocks: 3
; NumSGPRsForWavesPerEU: 46
; NumVGPRsForWavesPerEU: 14
; Occupancy: 10
; WaveLimiterHint : 0
; COMPUTE_PGM_RSRC2:SCRATCH_EN: 0
; COMPUTE_PGM_RSRC2:USER_SGPR: 6
; COMPUTE_PGM_RSRC2:TRAP_HANDLER: 0
; COMPUTE_PGM_RSRC2:TGID_X_EN: 1
; COMPUTE_PGM_RSRC2:TGID_Y_EN: 0
; COMPUTE_PGM_RSRC2:TGID_Z_EN: 0
; COMPUTE_PGM_RSRC2:TIDIG_COMP_CNT: 0
	.section	.text._ZN2at6native12_GLOBAL__N_132conv_depthwise2d_backward_kernelILi1ELi0EN3c104HalfEiEEvN5torch10headeronly6detail27GenericPackedTensorAccessorINS7_14TensorAccessorINS3_8ArrayRefIlEEKT1_Lm3ENS6_16DefaultPtrTraitsEiEENS_6detail16IndexBoundsCheckILm4EiEESD_Lm4ESE_iEENS8_INS9_ISB_SC_Lm3ESE_iEESI_SC_Lm4ESE_iEESJ_T2_iiiiiiiiiiiiiii,"axG",@progbits,_ZN2at6native12_GLOBAL__N_132conv_depthwise2d_backward_kernelILi1ELi0EN3c104HalfEiEEvN5torch10headeronly6detail27GenericPackedTensorAccessorINS7_14TensorAccessorINS3_8ArrayRefIlEEKT1_Lm3ENS6_16DefaultPtrTraitsEiEENS_6detail16IndexBoundsCheckILm4EiEESD_Lm4ESE_iEENS8_INS9_ISB_SC_Lm3ESE_iEESI_SC_Lm4ESE_iEESJ_T2_iiiiiiiiiiiiiii,comdat
	.globl	_ZN2at6native12_GLOBAL__N_132conv_depthwise2d_backward_kernelILi1ELi0EN3c104HalfEiEEvN5torch10headeronly6detail27GenericPackedTensorAccessorINS7_14TensorAccessorINS3_8ArrayRefIlEEKT1_Lm3ENS6_16DefaultPtrTraitsEiEENS_6detail16IndexBoundsCheckILm4EiEESD_Lm4ESE_iEENS8_INS9_ISB_SC_Lm3ESE_iEESI_SC_Lm4ESE_iEESJ_T2_iiiiiiiiiiiiiii ; -- Begin function _ZN2at6native12_GLOBAL__N_132conv_depthwise2d_backward_kernelILi1ELi0EN3c104HalfEiEEvN5torch10headeronly6detail27GenericPackedTensorAccessorINS7_14TensorAccessorINS3_8ArrayRefIlEEKT1_Lm3ENS6_16DefaultPtrTraitsEiEENS_6detail16IndexBoundsCheckILm4EiEESD_Lm4ESE_iEENS8_INS9_ISB_SC_Lm3ESE_iEESI_SC_Lm4ESE_iEESJ_T2_iiiiiiiiiiiiiii
	.p2align	8
	.type	_ZN2at6native12_GLOBAL__N_132conv_depthwise2d_backward_kernelILi1ELi0EN3c104HalfEiEEvN5torch10headeronly6detail27GenericPackedTensorAccessorINS7_14TensorAccessorINS3_8ArrayRefIlEEKT1_Lm3ENS6_16DefaultPtrTraitsEiEENS_6detail16IndexBoundsCheckILm4EiEESD_Lm4ESE_iEENS8_INS9_ISB_SC_Lm3ESE_iEESI_SC_Lm4ESE_iEESJ_T2_iiiiiiiiiiiiiii,@function
_ZN2at6native12_GLOBAL__N_132conv_depthwise2d_backward_kernelILi1ELi0EN3c104HalfEiEEvN5torch10headeronly6detail27GenericPackedTensorAccessorINS7_14TensorAccessorINS3_8ArrayRefIlEEKT1_Lm3ENS6_16DefaultPtrTraitsEiEENS_6detail16IndexBoundsCheckILm4EiEESD_Lm4ESE_iEENS8_INS9_ISB_SC_Lm3ESE_iEESI_SC_Lm4ESE_iEESJ_T2_iiiiiiiiiiiiiii: ; @_ZN2at6native12_GLOBAL__N_132conv_depthwise2d_backward_kernelILi1ELi0EN3c104HalfEiEEvN5torch10headeronly6detail27GenericPackedTensorAccessorINS7_14TensorAccessorINS3_8ArrayRefIlEEKT1_Lm3ENS6_16DefaultPtrTraitsEiEENS_6detail16IndexBoundsCheckILm4EiEESD_Lm4ESE_iEENS8_INS9_ISB_SC_Lm3ESE_iEESI_SC_Lm4ESE_iEESJ_T2_iiiiiiiiiiiiiii
; %bb.0:
	s_load_dword s2, s[4:5], 0xc4
	s_load_dwordx8 s[8:15], s[4:5], 0x78
	s_add_u32 s0, s4, 0xb8
	s_addc_u32 s1, s5, 0
	v_mov_b32_e32 v1, 0
	s_waitcnt lgkmcnt(0)
	s_and_b32 s2, s2, 0xffff
	v_mov_b32_e32 v2, s6
	v_mad_u64_u32 v[0:1], s[6:7], s2, v2, v[0:1]
	s_ashr_i32 s21, s8, 31
	s_mov_b32 s20, s8
	v_cmp_gt_i64_e32 vcc, s[20:21], v[0:1]
	s_and_saveexec_b64 s[6:7], vcc
	s_cbranch_execz .LBB48_14
; %bb.1:
	s_cmp_gt_i32 s10, 0
	s_load_dwordx4 s[16:19], s[4:5], 0x98
	s_load_dwordx2 s[22:23], s[4:5], 0xa8
	s_load_dword s3, s[0:1], 0x0
	s_cselect_b64 s[0:1], -1, 0
	s_abs_i32 s8, s12
	v_cvt_f32_u32_e32 v2, s8
	s_abs_i32 s33, s13
	v_cvt_f32_u32_e32 v3, s33
	s_waitcnt lgkmcnt(0)
	s_mul_i32 s38, s3, s2
	v_rcp_iflag_f32_e32 v2, v2
	s_sub_i32 s2, 0, s8
	v_rcp_iflag_f32_e32 v3, v3
	s_abs_i32 s40, s9
	v_mul_f32_e32 v2, 0x4f7ffffe, v2
	v_cvt_u32_f32_e32 v2, v2
	v_mul_f32_e32 v3, 0x4f7ffffe, v3
	v_cvt_f32_u32_e32 v5, s40
	v_cvt_u32_f32_e32 v3, v3
	v_mul_lo_u32 v4, s2, v2
	s_sub_i32 s2, 0, s33
	v_rcp_iflag_f32_e32 v5, v5
	v_mul_lo_u32 v7, s2, v3
	v_mul_hi_u32 v4, v2, v4
	s_abs_i32 s42, s19
	s_abs_i32 s43, s18
	v_cvt_f32_u32_e32 v8, s43
	v_add_u32_e32 v6, v2, v4
	v_mul_f32_e32 v4, 0x4f7ffffe, v5
	v_cvt_f32_u32_e32 v5, s42
	v_mul_hi_u32 v2, v3, v7
	v_cvt_u32_f32_e32 v4, v4
	s_sub_i32 s2, 0, s40
	v_rcp_iflag_f32_e32 v5, v5
	v_add_u32_e32 v7, v3, v2
	v_rcp_iflag_f32_e32 v2, v8
	v_mul_lo_u32 v9, s2, v4
	v_mul_f32_e32 v5, 0x4f7ffffe, v5
	v_cvt_u32_f32_e32 v5, v5
	v_mul_f32_e32 v2, 0x4f7ffffe, v2
	v_cvt_u32_f32_e32 v2, v2
	s_sub_i32 s2, 0, s42
	v_mul_lo_u32 v8, s2, v5
	s_sub_i32 s2, 0, s43
	v_mul_hi_u32 v3, v4, v9
	v_mul_lo_u32 v9, s2, v2
	s_load_dwordx2 s[24:25], s[4:5], 0x0
	s_load_dwordx2 s[26:27], s[4:5], 0x28
	;; [unrolled: 1-line block ×3, first 2 shown]
	v_mul_hi_u32 v10, v5, v8
	v_add_u32_e32 v8, v4, v3
	v_mul_hi_u32 v3, v2, v9
	s_mul_i32 s47, s17, s16
	v_add_u32_e32 v9, v5, v10
	s_ashr_i32 s39, s12, 31
	v_add_u32_e32 v10, v2, v3
	v_cndmask_b32_e64 v2, 0, 1, s[0:1]
	s_ashr_i32 s41, s13, 31
	s_ashr_i32 s44, s9, 31
	;; [unrolled: 1-line block ×4, first 2 shown]
	s_mul_i32 s48, s47, s10
	s_mul_i32 s49, s15, s14
	s_mov_b64 s[16:17], 0
	v_cmp_ne_u32_e64 s[0:1], 1, v2
	s_branch .LBB48_4
.LBB48_2:                               ;   in Loop: Header=BB48_4 Depth=1
	v_cvt_f16_f32_e32 v2, v11
.LBB48_3:                               ;   in Loop: Header=BB48_4 Depth=1
	v_lshlrev_b64 v[3:4], 1, v[0:1]
	v_add_co_u32_e32 v0, vcc, s38, v0
	v_addc_co_u32_e32 v1, vcc, 0, v1, vcc
	v_cmp_le_i64_e32 vcc, s[20:21], v[0:1]
	s_waitcnt lgkmcnt(0)
	v_mov_b32_e32 v5, s27
	v_add_co_u32_e64 v3, s[2:3], s26, v3
	v_addc_co_u32_e64 v4, s[2:3], v5, v4, s[2:3]
	s_or_b64 s[16:17], vcc, s[16:17]
	global_store_short v[3:4], v2, off
	s_andn2_b64 exec, exec, s[16:17]
	s_cbranch_execz .LBB48_14
.LBB48_4:                               ; =>This Loop Header: Depth=1
                                        ;     Child Loop BB48_9 Depth 2
	s_and_b64 vcc, exec, s[0:1]
	s_cbranch_vccnz .LBB48_13
; %bb.5:                                ;   in Loop: Header=BB48_4 Depth=1
	v_sub_u32_e32 v2, 0, v0
	v_max_i32_e32 v2, v0, v2
	v_mul_hi_u32 v3, v2, v6
	v_ashrrev_i32_e32 v5, 31, v0
	v_xor_b32_e32 v5, s39, v5
	s_mov_b32 s50, s10
	v_mul_lo_u32 v4, v3, s8
	v_add_u32_e32 v11, 1, v3
	v_sub_u32_e32 v2, v2, v4
	v_cmp_le_u32_e32 vcc, s8, v2
	v_subrev_u32_e32 v4, s8, v2
	v_cndmask_b32_e32 v3, v3, v11, vcc
	v_cndmask_b32_e32 v2, v2, v4, vcc
	v_add_u32_e32 v4, 1, v3
	v_cmp_le_u32_e32 vcc, s8, v2
	v_cndmask_b32_e32 v2, v3, v4, vcc
	v_xor_b32_e32 v2, v2, v5
	v_sub_u32_e32 v2, v2, v5
	v_sub_u32_e32 v3, 0, v2
	v_max_i32_e32 v3, v2, v3
	v_mul_hi_u32 v4, v3, v7
	v_ashrrev_i32_e32 v11, 31, v2
	v_xor_b32_e32 v11, s41, v11
	v_mul_lo_u32 v5, v4, s33
	v_add_u32_e32 v12, 1, v4
	v_sub_u32_e32 v3, v3, v5
	v_cmp_le_u32_e32 vcc, s33, v3
	v_subrev_u32_e32 v5, s33, v3
	v_cndmask_b32_e32 v4, v4, v12, vcc
	v_cndmask_b32_e32 v3, v3, v5, vcc
	v_add_u32_e32 v5, 1, v4
	v_cmp_le_u32_e32 vcc, s33, v3
	v_cndmask_b32_e32 v3, v4, v5, vcc
	v_xor_b32_e32 v3, v3, v11
	v_sub_u32_e32 v3, v3, v11
	v_sub_u32_e32 v4, 0, v3
	v_max_i32_e32 v4, v3, v4
	v_mul_hi_u32 v5, v4, v8
	v_ashrrev_i32_e32 v12, 31, v3
	v_xor_b32_e32 v12, s44, v12
	v_mul_lo_u32 v11, v5, s40
	v_add_u32_e32 v13, 1, v5
	v_sub_u32_e32 v4, v4, v11
	v_cmp_le_u32_e32 vcc, s40, v4
	v_cndmask_b32_e32 v5, v5, v13, vcc
	v_mul_lo_u32 v13, v3, s13
	v_subrev_u32_e32 v11, s40, v4
	v_cndmask_b32_e32 v4, v4, v11, vcc
	v_add_u32_e32 v11, 1, v5
	v_cmp_le_u32_e32 vcc, s40, v4
	v_cndmask_b32_e32 v4, v5, v11, vcc
	v_sub_u32_e32 v5, v2, v13
	v_add_u32_e32 v5, s23, v5
	v_sub_u32_e32 v11, 0, v5
	v_max_i32_e32 v11, v5, v11
	v_mul_hi_u32 v13, v11, v9
	v_mul_lo_u32 v2, v2, s12
	v_xor_b32_e32 v4, v4, v12
	v_sub_u32_e32 v4, v4, v12
	v_mul_lo_u32 v14, v13, s42
	v_sub_u32_e32 v2, v0, v2
	v_add_u32_e32 v15, s22, v2
	v_ashrrev_i32_e32 v2, 31, v5
	v_xor_b32_e32 v16, s45, v2
	v_sub_u32_e32 v2, v11, v14
	v_add_u32_e32 v11, 1, v13
	v_cmp_le_u32_e32 vcc, s42, v2
	v_cndmask_b32_e32 v11, v13, v11, vcc
	v_subrev_u32_e32 v13, s42, v2
	v_cndmask_b32_e32 v2, v2, v13, vcc
	v_add_u32_e32 v13, 1, v11
	v_cmp_le_u32_e32 vcc, s42, v2
	v_cndmask_b32_e32 v2, v11, v13, vcc
	v_sub_u32_e32 v13, 0, v15
	v_max_i32_e32 v13, v15, v13
	v_mul_lo_u32 v12, v4, s9
	v_mul_hi_u32 v14, v13, v10
	v_xor_b32_e32 v2, v2, v16
	v_sub_u32_e32 v11, v2, v16
	v_sub_u32_e32 v12, v3, v12
	v_mul_lo_u32 v3, v14, s43
	v_mul_lo_u32 v17, v11, s19
	v_mul_lo_u32 v4, v4, s11
	v_sub_u32_e32 v3, v13, v3
	v_add_u32_e32 v13, 1, v14
	v_cmp_le_u32_e32 vcc, s43, v3
	v_cndmask_b32_e32 v13, v14, v13, vcc
	v_subrev_u32_e32 v14, s43, v3
	v_cndmask_b32_e32 v3, v3, v14, vcc
	v_sub_u32_e32 v5, v5, v17
	v_ashrrev_i32_e32 v17, 31, v15
	v_add_u32_e32 v14, 1, v13
	v_cmp_le_u32_e32 vcc, s43, v3
	v_xor_b32_e32 v17, s46, v17
	v_cndmask_b32_e32 v3, v13, v14, vcc
	v_xor_b32_e32 v3, v3, v17
	v_sub_u32_e32 v13, v3, v17
	v_mul_lo_u32 v14, v13, s18
	v_cmp_eq_u32_e32 vcc, 0, v5
	v_cmp_gt_i32_e64 s[6:7], s14, v13
	v_sub_u32_e32 v5, v15, v14
	v_cmp_eq_u32_e64 s[2:3], 0, v5
	v_mad_u64_u32 v[4:5], s[4:5], v12, s10, v[4:5]
	v_cmp_lt_i32_e64 s[4:5], -1, v11
	s_and_b64 s[30:31], s[2:3], s[4:5]
	v_mad_u64_u32 v[4:5], s[2:3], s15, v4, v[2:3]
	v_cmp_lt_i32_e64 s[4:5], -1, v13
	v_cmp_gt_i32_e64 s[2:3], s15, v11
	v_sub_u32_e32 v2, v4, v16
	v_mad_u64_u32 v[3:4], s[34:35], s14, v2, v[3:4]
	v_mul_lo_u32 v2, s48, v12
	s_and_b64 s[4:5], s[4:5], s[6:7]
	s_and_b64 s[4:5], s[2:3], s[4:5]
	v_sub_u32_e32 v4, v3, v17
	v_mov_b32_e32 v11, 0
	s_branch .LBB48_9
.LBB48_6:                               ;   in Loop: Header=BB48_9 Depth=2
	s_or_b64 exec, exec, s[36:37]
.LBB48_7:                               ;   in Loop: Header=BB48_9 Depth=2
	s_or_b64 exec, exec, s[34:35]
.LBB48_8:                               ;   in Loop: Header=BB48_9 Depth=2
	s_or_b64 exec, exec, s[6:7]
	s_add_i32 s50, s50, -1
	v_add_u32_e32 v2, s47, v2
	s_cmp_eq_u32 s50, 0
	v_add_u32_e32 v4, s49, v4
	s_cbranch_scc1 .LBB48_2
.LBB48_9:                               ;   Parent Loop BB48_4 Depth=1
                                        ; =>  This Inner Loop Header: Depth=2
	s_and_saveexec_b64 s[6:7], vcc
	s_cbranch_execz .LBB48_8
; %bb.10:                               ;   in Loop: Header=BB48_9 Depth=2
	s_and_saveexec_b64 s[34:35], s[30:31]
	s_cbranch_execz .LBB48_7
; %bb.11:                               ;   in Loop: Header=BB48_9 Depth=2
	s_and_saveexec_b64 s[36:37], s[4:5]
	s_cbranch_execz .LBB48_6
; %bb.12:                               ;   in Loop: Header=BB48_9 Depth=2
	v_ashrrev_i32_e32 v3, 31, v2
	v_lshlrev_b64 v[12:13], 1, v[2:3]
	s_waitcnt lgkmcnt(0)
	v_mov_b32_e32 v3, s29
	v_add_co_u32_e64 v12, s[2:3], s28, v12
	v_addc_co_u32_e64 v13, s[2:3], v3, v13, s[2:3]
	v_ashrrev_i32_e32 v5, 31, v4
	global_load_ushort v3, v[12:13], off
	v_lshlrev_b64 v[12:13], 1, v[4:5]
	v_mov_b32_e32 v5, s25
	v_add_co_u32_e64 v12, s[2:3], s24, v12
	v_addc_co_u32_e64 v13, s[2:3], v5, v13, s[2:3]
	global_load_ushort v5, v[12:13], off
	s_waitcnt vmcnt(0)
	v_fma_mix_f32 v11, v3, v5, v11 op_sel_hi:[1,1,0]
	s_branch .LBB48_6
.LBB48_13:                              ;   in Loop: Header=BB48_4 Depth=1
	v_mov_b32_e32 v2, 0
	s_branch .LBB48_3
.LBB48_14:
	s_endpgm
	.section	.rodata,"a",@progbits
	.p2align	6, 0x0
	.amdhsa_kernel _ZN2at6native12_GLOBAL__N_132conv_depthwise2d_backward_kernelILi1ELi0EN3c104HalfEiEEvN5torch10headeronly6detail27GenericPackedTensorAccessorINS7_14TensorAccessorINS3_8ArrayRefIlEEKT1_Lm3ENS6_16DefaultPtrTraitsEiEENS_6detail16IndexBoundsCheckILm4EiEESD_Lm4ESE_iEENS8_INS9_ISB_SC_Lm3ESE_iEESI_SC_Lm4ESE_iEESJ_T2_iiiiiiiiiiiiiii
		.amdhsa_group_segment_fixed_size 0
		.amdhsa_private_segment_fixed_size 0
		.amdhsa_kernarg_size 440
		.amdhsa_user_sgpr_count 6
		.amdhsa_user_sgpr_private_segment_buffer 1
		.amdhsa_user_sgpr_dispatch_ptr 0
		.amdhsa_user_sgpr_queue_ptr 0
		.amdhsa_user_sgpr_kernarg_segment_ptr 1
		.amdhsa_user_sgpr_dispatch_id 0
		.amdhsa_user_sgpr_flat_scratch_init 0
		.amdhsa_user_sgpr_private_segment_size 0
		.amdhsa_uses_dynamic_stack 0
		.amdhsa_system_sgpr_private_segment_wavefront_offset 0
		.amdhsa_system_sgpr_workgroup_id_x 1
		.amdhsa_system_sgpr_workgroup_id_y 0
		.amdhsa_system_sgpr_workgroup_id_z 0
		.amdhsa_system_sgpr_workgroup_info 0
		.amdhsa_system_vgpr_workitem_id 0
		.amdhsa_next_free_vgpr 18
		.amdhsa_next_free_sgpr 51
		.amdhsa_reserve_vcc 1
		.amdhsa_reserve_flat_scratch 0
		.amdhsa_float_round_mode_32 0
		.amdhsa_float_round_mode_16_64 0
		.amdhsa_float_denorm_mode_32 3
		.amdhsa_float_denorm_mode_16_64 3
		.amdhsa_dx10_clamp 1
		.amdhsa_ieee_mode 1
		.amdhsa_fp16_overflow 0
		.amdhsa_exception_fp_ieee_invalid_op 0
		.amdhsa_exception_fp_denorm_src 0
		.amdhsa_exception_fp_ieee_div_zero 0
		.amdhsa_exception_fp_ieee_overflow 0
		.amdhsa_exception_fp_ieee_underflow 0
		.amdhsa_exception_fp_ieee_inexact 0
		.amdhsa_exception_int_div_zero 0
	.end_amdhsa_kernel
	.section	.text._ZN2at6native12_GLOBAL__N_132conv_depthwise2d_backward_kernelILi1ELi0EN3c104HalfEiEEvN5torch10headeronly6detail27GenericPackedTensorAccessorINS7_14TensorAccessorINS3_8ArrayRefIlEEKT1_Lm3ENS6_16DefaultPtrTraitsEiEENS_6detail16IndexBoundsCheckILm4EiEESD_Lm4ESE_iEENS8_INS9_ISB_SC_Lm3ESE_iEESI_SC_Lm4ESE_iEESJ_T2_iiiiiiiiiiiiiii,"axG",@progbits,_ZN2at6native12_GLOBAL__N_132conv_depthwise2d_backward_kernelILi1ELi0EN3c104HalfEiEEvN5torch10headeronly6detail27GenericPackedTensorAccessorINS7_14TensorAccessorINS3_8ArrayRefIlEEKT1_Lm3ENS6_16DefaultPtrTraitsEiEENS_6detail16IndexBoundsCheckILm4EiEESD_Lm4ESE_iEENS8_INS9_ISB_SC_Lm3ESE_iEESI_SC_Lm4ESE_iEESJ_T2_iiiiiiiiiiiiiii,comdat
.Lfunc_end48:
	.size	_ZN2at6native12_GLOBAL__N_132conv_depthwise2d_backward_kernelILi1ELi0EN3c104HalfEiEEvN5torch10headeronly6detail27GenericPackedTensorAccessorINS7_14TensorAccessorINS3_8ArrayRefIlEEKT1_Lm3ENS6_16DefaultPtrTraitsEiEENS_6detail16IndexBoundsCheckILm4EiEESD_Lm4ESE_iEENS8_INS9_ISB_SC_Lm3ESE_iEESI_SC_Lm4ESE_iEESJ_T2_iiiiiiiiiiiiiii, .Lfunc_end48-_ZN2at6native12_GLOBAL__N_132conv_depthwise2d_backward_kernelILi1ELi0EN3c104HalfEiEEvN5torch10headeronly6detail27GenericPackedTensorAccessorINS7_14TensorAccessorINS3_8ArrayRefIlEEKT1_Lm3ENS6_16DefaultPtrTraitsEiEENS_6detail16IndexBoundsCheckILm4EiEESD_Lm4ESE_iEENS8_INS9_ISB_SC_Lm3ESE_iEESI_SC_Lm4ESE_iEESJ_T2_iiiiiiiiiiiiiii
                                        ; -- End function
	.set _ZN2at6native12_GLOBAL__N_132conv_depthwise2d_backward_kernelILi1ELi0EN3c104HalfEiEEvN5torch10headeronly6detail27GenericPackedTensorAccessorINS7_14TensorAccessorINS3_8ArrayRefIlEEKT1_Lm3ENS6_16DefaultPtrTraitsEiEENS_6detail16IndexBoundsCheckILm4EiEESD_Lm4ESE_iEENS8_INS9_ISB_SC_Lm3ESE_iEESI_SC_Lm4ESE_iEESJ_T2_iiiiiiiiiiiiiii.num_vgpr, 18
	.set _ZN2at6native12_GLOBAL__N_132conv_depthwise2d_backward_kernelILi1ELi0EN3c104HalfEiEEvN5torch10headeronly6detail27GenericPackedTensorAccessorINS7_14TensorAccessorINS3_8ArrayRefIlEEKT1_Lm3ENS6_16DefaultPtrTraitsEiEENS_6detail16IndexBoundsCheckILm4EiEESD_Lm4ESE_iEENS8_INS9_ISB_SC_Lm3ESE_iEESI_SC_Lm4ESE_iEESJ_T2_iiiiiiiiiiiiiii.num_agpr, 0
	.set _ZN2at6native12_GLOBAL__N_132conv_depthwise2d_backward_kernelILi1ELi0EN3c104HalfEiEEvN5torch10headeronly6detail27GenericPackedTensorAccessorINS7_14TensorAccessorINS3_8ArrayRefIlEEKT1_Lm3ENS6_16DefaultPtrTraitsEiEENS_6detail16IndexBoundsCheckILm4EiEESD_Lm4ESE_iEENS8_INS9_ISB_SC_Lm3ESE_iEESI_SC_Lm4ESE_iEESJ_T2_iiiiiiiiiiiiiii.numbered_sgpr, 51
	.set _ZN2at6native12_GLOBAL__N_132conv_depthwise2d_backward_kernelILi1ELi0EN3c104HalfEiEEvN5torch10headeronly6detail27GenericPackedTensorAccessorINS7_14TensorAccessorINS3_8ArrayRefIlEEKT1_Lm3ENS6_16DefaultPtrTraitsEiEENS_6detail16IndexBoundsCheckILm4EiEESD_Lm4ESE_iEENS8_INS9_ISB_SC_Lm3ESE_iEESI_SC_Lm4ESE_iEESJ_T2_iiiiiiiiiiiiiii.num_named_barrier, 0
	.set _ZN2at6native12_GLOBAL__N_132conv_depthwise2d_backward_kernelILi1ELi0EN3c104HalfEiEEvN5torch10headeronly6detail27GenericPackedTensorAccessorINS7_14TensorAccessorINS3_8ArrayRefIlEEKT1_Lm3ENS6_16DefaultPtrTraitsEiEENS_6detail16IndexBoundsCheckILm4EiEESD_Lm4ESE_iEENS8_INS9_ISB_SC_Lm3ESE_iEESI_SC_Lm4ESE_iEESJ_T2_iiiiiiiiiiiiiii.private_seg_size, 0
	.set _ZN2at6native12_GLOBAL__N_132conv_depthwise2d_backward_kernelILi1ELi0EN3c104HalfEiEEvN5torch10headeronly6detail27GenericPackedTensorAccessorINS7_14TensorAccessorINS3_8ArrayRefIlEEKT1_Lm3ENS6_16DefaultPtrTraitsEiEENS_6detail16IndexBoundsCheckILm4EiEESD_Lm4ESE_iEENS8_INS9_ISB_SC_Lm3ESE_iEESI_SC_Lm4ESE_iEESJ_T2_iiiiiiiiiiiiiii.uses_vcc, 1
	.set _ZN2at6native12_GLOBAL__N_132conv_depthwise2d_backward_kernelILi1ELi0EN3c104HalfEiEEvN5torch10headeronly6detail27GenericPackedTensorAccessorINS7_14TensorAccessorINS3_8ArrayRefIlEEKT1_Lm3ENS6_16DefaultPtrTraitsEiEENS_6detail16IndexBoundsCheckILm4EiEESD_Lm4ESE_iEENS8_INS9_ISB_SC_Lm3ESE_iEESI_SC_Lm4ESE_iEESJ_T2_iiiiiiiiiiiiiii.uses_flat_scratch, 0
	.set _ZN2at6native12_GLOBAL__N_132conv_depthwise2d_backward_kernelILi1ELi0EN3c104HalfEiEEvN5torch10headeronly6detail27GenericPackedTensorAccessorINS7_14TensorAccessorINS3_8ArrayRefIlEEKT1_Lm3ENS6_16DefaultPtrTraitsEiEENS_6detail16IndexBoundsCheckILm4EiEESD_Lm4ESE_iEENS8_INS9_ISB_SC_Lm3ESE_iEESI_SC_Lm4ESE_iEESJ_T2_iiiiiiiiiiiiiii.has_dyn_sized_stack, 0
	.set _ZN2at6native12_GLOBAL__N_132conv_depthwise2d_backward_kernelILi1ELi0EN3c104HalfEiEEvN5torch10headeronly6detail27GenericPackedTensorAccessorINS7_14TensorAccessorINS3_8ArrayRefIlEEKT1_Lm3ENS6_16DefaultPtrTraitsEiEENS_6detail16IndexBoundsCheckILm4EiEESD_Lm4ESE_iEENS8_INS9_ISB_SC_Lm3ESE_iEESI_SC_Lm4ESE_iEESJ_T2_iiiiiiiiiiiiiii.has_recursion, 0
	.set _ZN2at6native12_GLOBAL__N_132conv_depthwise2d_backward_kernelILi1ELi0EN3c104HalfEiEEvN5torch10headeronly6detail27GenericPackedTensorAccessorINS7_14TensorAccessorINS3_8ArrayRefIlEEKT1_Lm3ENS6_16DefaultPtrTraitsEiEENS_6detail16IndexBoundsCheckILm4EiEESD_Lm4ESE_iEENS8_INS9_ISB_SC_Lm3ESE_iEESI_SC_Lm4ESE_iEESJ_T2_iiiiiiiiiiiiiii.has_indirect_call, 0
	.section	.AMDGPU.csdata,"",@progbits
; Kernel info:
; codeLenInByte = 1244
; TotalNumSgprs: 55
; NumVgprs: 18
; ScratchSize: 0
; MemoryBound: 0
; FloatMode: 240
; IeeeMode: 1
; LDSByteSize: 0 bytes/workgroup (compile time only)
; SGPRBlocks: 6
; VGPRBlocks: 4
; NumSGPRsForWavesPerEU: 55
; NumVGPRsForWavesPerEU: 18
; Occupancy: 10
; WaveLimiterHint : 0
; COMPUTE_PGM_RSRC2:SCRATCH_EN: 0
; COMPUTE_PGM_RSRC2:USER_SGPR: 6
; COMPUTE_PGM_RSRC2:TRAP_HANDLER: 0
; COMPUTE_PGM_RSRC2:TGID_X_EN: 1
; COMPUTE_PGM_RSRC2:TGID_Y_EN: 0
; COMPUTE_PGM_RSRC2:TGID_Z_EN: 0
; COMPUTE_PGM_RSRC2:TIDIG_COMP_CNT: 0
	.section	.text._ZN2at6native12_GLOBAL__N_132conv_depthwise2d_backward_kernelILi0ELi1EN3c104HalfEiEEvN5torch10headeronly6detail27GenericPackedTensorAccessorINS7_14TensorAccessorINS3_8ArrayRefIlEEKT1_Lm3ENS6_16DefaultPtrTraitsEiEENS_6detail16IndexBoundsCheckILm4EiEESD_Lm4ESE_iEENS8_INS9_ISB_SC_Lm3ESE_iEESI_SC_Lm4ESE_iEESJ_T2_iiiiiiiiiiiiiii,"axG",@progbits,_ZN2at6native12_GLOBAL__N_132conv_depthwise2d_backward_kernelILi0ELi1EN3c104HalfEiEEvN5torch10headeronly6detail27GenericPackedTensorAccessorINS7_14TensorAccessorINS3_8ArrayRefIlEEKT1_Lm3ENS6_16DefaultPtrTraitsEiEENS_6detail16IndexBoundsCheckILm4EiEESD_Lm4ESE_iEENS8_INS9_ISB_SC_Lm3ESE_iEESI_SC_Lm4ESE_iEESJ_T2_iiiiiiiiiiiiiii,comdat
	.globl	_ZN2at6native12_GLOBAL__N_132conv_depthwise2d_backward_kernelILi0ELi1EN3c104HalfEiEEvN5torch10headeronly6detail27GenericPackedTensorAccessorINS7_14TensorAccessorINS3_8ArrayRefIlEEKT1_Lm3ENS6_16DefaultPtrTraitsEiEENS_6detail16IndexBoundsCheckILm4EiEESD_Lm4ESE_iEENS8_INS9_ISB_SC_Lm3ESE_iEESI_SC_Lm4ESE_iEESJ_T2_iiiiiiiiiiiiiii ; -- Begin function _ZN2at6native12_GLOBAL__N_132conv_depthwise2d_backward_kernelILi0ELi1EN3c104HalfEiEEvN5torch10headeronly6detail27GenericPackedTensorAccessorINS7_14TensorAccessorINS3_8ArrayRefIlEEKT1_Lm3ENS6_16DefaultPtrTraitsEiEENS_6detail16IndexBoundsCheckILm4EiEESD_Lm4ESE_iEENS8_INS9_ISB_SC_Lm3ESE_iEESI_SC_Lm4ESE_iEESJ_T2_iiiiiiiiiiiiiii
	.p2align	8
	.type	_ZN2at6native12_GLOBAL__N_132conv_depthwise2d_backward_kernelILi0ELi1EN3c104HalfEiEEvN5torch10headeronly6detail27GenericPackedTensorAccessorINS7_14TensorAccessorINS3_8ArrayRefIlEEKT1_Lm3ENS6_16DefaultPtrTraitsEiEENS_6detail16IndexBoundsCheckILm4EiEESD_Lm4ESE_iEENS8_INS9_ISB_SC_Lm3ESE_iEESI_SC_Lm4ESE_iEESJ_T2_iiiiiiiiiiiiiii,@function
_ZN2at6native12_GLOBAL__N_132conv_depthwise2d_backward_kernelILi0ELi1EN3c104HalfEiEEvN5torch10headeronly6detail27GenericPackedTensorAccessorINS7_14TensorAccessorINS3_8ArrayRefIlEEKT1_Lm3ENS6_16DefaultPtrTraitsEiEENS_6detail16IndexBoundsCheckILm4EiEESD_Lm4ESE_iEENS8_INS9_ISB_SC_Lm3ESE_iEESI_SC_Lm4ESE_iEESJ_T2_iiiiiiiiiiiiiii: ; @_ZN2at6native12_GLOBAL__N_132conv_depthwise2d_backward_kernelILi0ELi1EN3c104HalfEiEEvN5torch10headeronly6detail27GenericPackedTensorAccessorINS7_14TensorAccessorINS3_8ArrayRefIlEEKT1_Lm3ENS6_16DefaultPtrTraitsEiEENS_6detail16IndexBoundsCheckILm4EiEESD_Lm4ESE_iEENS8_INS9_ISB_SC_Lm3ESE_iEESI_SC_Lm4ESE_iEESJ_T2_iiiiiiiiiiiiiii
; %bb.0:
	s_load_dword s2, s[4:5], 0xc4
	s_load_dwordx8 s[8:15], s[4:5], 0x78
	s_add_u32 s0, s4, 0xb8
	s_addc_u32 s1, s5, 0
	v_mov_b32_e32 v1, 0
	s_waitcnt lgkmcnt(0)
	s_and_b32 s2, s2, 0xffff
	v_mov_b32_e32 v2, s6
	v_mad_u64_u32 v[1:2], s[16:17], s2, v2, v[0:1]
	s_ashr_i32 s21, s8, 31
	s_mov_b32 s20, s8
	v_cmp_gt_i64_e32 vcc, s[20:21], v[1:2]
	s_and_saveexec_b64 s[16:17], vcc
	s_cbranch_execz .LBB49_18
; %bb.1:
	s_load_dwordx2 s[22:23], s[4:5], 0x98
	s_load_dwordx2 s[24:25], s[4:5], 0x50
	s_cmp_gt_i32 s10, 0
	s_cselect_b64 s[38:39], -1, 0
	s_load_dwordx2 s[30:31], s[4:5], 0x0
	s_load_dwordx2 s[34:35], s[4:5], 0x28
	s_waitcnt lgkmcnt(0)
	s_cmp_gt_i32 s23, 0
	s_cselect_b64 s[26:27], -1, 0
	s_cmp_gt_i32 s22, 0
	s_cselect_b64 s[28:29], -1, 0
	s_abs_i32 s8, s12
	v_cvt_f32_u32_e32 v3, s8
	s_abs_i32 s33, s13
	v_cvt_f32_u32_e32 v4, s33
	s_abs_i32 s40, s9
	v_rcp_iflag_f32_e32 v3, v3
	v_cvt_f32_u32_e32 v5, s40
	v_rcp_iflag_f32_e32 v4, v4
	s_load_dwordx4 s[16:19], s[4:5], 0xa8
	s_load_dword s3, s[0:1], 0x0
	v_mul_f32_e32 v3, 0x4f7ffffe, v3
	v_rcp_iflag_f32_e32 v5, v5
	v_cvt_u32_f32_e32 v3, v3
	v_mul_f32_e32 v4, 0x4f7ffffe, v4
	s_sub_i32 s0, 0, s8
	v_cvt_u32_f32_e32 v4, v4
	v_mul_f32_e32 v5, 0x4f7ffffe, v5
	v_mul_lo_u32 v6, s0, v3
	v_cvt_u32_f32_e32 v5, v5
	s_sub_i32 s0, 0, s33
	v_mul_lo_u32 v7, s0, v4
	s_sub_i32 s0, 0, s40
	v_mul_hi_u32 v6, v3, v6
	v_mul_lo_u32 v8, s0, v5
	v_mul_hi_u32 v7, v4, v7
	s_mul_i32 s0, s6, s2
	v_add_u32_e32 v6, v3, v6
	v_mul_hi_u32 v3, v5, v8
	s_waitcnt lgkmcnt(0)
	s_add_i32 s0, s0, s16
	s_mul_i32 s16, s23, s22
	s_mul_i32 s41, s3, s2
	v_add_u32_e32 v8, v5, v3
	v_cndmask_b32_e64 v3, 0, 1, s[38:39]
	s_ashr_i32 s42, s12, 31
	s_ashr_i32 s43, s13, 31
	v_add_u32_e32 v7, v4, v7
	s_ashr_i32 s44, s9, 31
	s_mul_i32 s45, s15, s14
	s_mul_i32 s46, s19, s14
	v_add_u32_e32 v0, s0, v0
	s_mul_i32 s47, s16, s10
	s_max_i32 s48, s22, 0
	s_mov_b64 s[36:37], 0
	v_cmp_ne_u32_e64 s[0:1], 1, v3
	s_branch .LBB49_4
.LBB49_2:                               ;   in Loop: Header=BB49_4 Depth=1
	v_cvt_f16_f32_e32 v3, v13
.LBB49_3:                               ;   in Loop: Header=BB49_4 Depth=1
	v_lshlrev_b64 v[4:5], 1, v[1:2]
	v_mov_b32_e32 v9, s35
	v_add_co_u32_e32 v4, vcc, s34, v4
	v_addc_co_u32_e32 v5, vcc, v9, v5, vcc
	v_add_co_u32_e32 v1, vcc, s41, v1
	v_addc_co_u32_e32 v2, vcc, 0, v2, vcc
	v_cmp_le_i64_e32 vcc, s[20:21], v[1:2]
	v_add_u32_e32 v0, s41, v0
	s_or_b64 s[36:37], vcc, s[36:37]
	global_store_short v[4:5], v3, off
	s_andn2_b64 exec, exec, s[36:37]
	s_cbranch_execz .LBB49_18
.LBB49_4:                               ; =>This Loop Header: Depth=1
                                        ;     Child Loop BB49_7 Depth 2
                                        ;       Child Loop BB49_10 Depth 3
                                        ;         Child Loop BB49_14 Depth 4
	s_and_b64 vcc, exec, s[0:1]
	s_cbranch_vccnz .LBB49_17
; %bb.5:                                ;   in Loop: Header=BB49_4 Depth=1
	v_sub_u32_e32 v3, 0, v1
	v_max_i32_e32 v3, v1, v3
	v_mul_hi_u32 v4, v3, v6
	v_ashrrev_i32_e32 v9, 31, v1
	v_xor_b32_e32 v10, s42, v9
	s_mov_b32 s49, 0
	v_mul_lo_u32 v5, v4, s8
	v_add_u32_e32 v9, 1, v4
	v_sub_u32_e32 v3, v3, v5
	v_cmp_le_u32_e32 vcc, s8, v3
	v_subrev_u32_e32 v5, s8, v3
	v_cndmask_b32_e32 v4, v4, v9, vcc
	v_cndmask_b32_e32 v3, v3, v5, vcc
	v_add_u32_e32 v5, 1, v4
	v_cmp_le_u32_e32 vcc, s8, v3
	v_cndmask_b32_e32 v3, v4, v5, vcc
	v_xor_b32_e32 v5, v3, v10
	v_sub_u32_e32 v12, v5, v10
	v_sub_u32_e32 v3, 0, v12
	v_max_i32_e32 v3, v12, v3
	v_mul_hi_u32 v4, v3, v7
	v_ashrrev_i32_e32 v11, 31, v12
	v_xor_b32_e32 v11, s43, v11
	v_mul_lo_u32 v9, v4, s33
	v_add_u32_e32 v13, 1, v4
	v_sub_u32_e32 v3, v3, v9
	v_cmp_le_u32_e32 vcc, s33, v3
	v_subrev_u32_e32 v9, s33, v3
	v_cndmask_b32_e32 v4, v4, v13, vcc
	v_cndmask_b32_e32 v3, v3, v9, vcc
	v_add_u32_e32 v9, 1, v4
	v_cmp_le_u32_e32 vcc, s33, v3
	v_cndmask_b32_e32 v3, v4, v9, vcc
	v_xor_b32_e32 v3, v3, v11
	v_sub_u32_e32 v9, v3, v11
	v_sub_u32_e32 v3, 0, v9
	v_max_i32_e32 v3, v9, v3
	v_mul_hi_u32 v4, v3, v8
	v_ashrrev_i32_e32 v13, 31, v9
	v_xor_b32_e32 v13, s44, v13
	v_mul_lo_u32 v11, v4, s40
	v_add_u32_e32 v14, 1, v4
	v_sub_u32_e32 v3, v3, v11
	v_cmp_le_u32_e32 vcc, s40, v3
	v_subrev_u32_e32 v11, s40, v3
	v_cndmask_b32_e32 v4, v4, v14, vcc
	v_cndmask_b32_e32 v3, v3, v11, vcc
	v_add_u32_e32 v11, 1, v4
	v_cmp_le_u32_e32 vcc, s40, v3
	v_cndmask_b32_e32 v3, v4, v11, vcc
	v_xor_b32_e32 v3, v3, v13
	v_sub_u32_e32 v3, v3, v13
	v_mul_lo_u32 v4, v3, s9
	v_mul_lo_u32 v3, v3, s11
	v_mov_b32_e32 v13, 0
	v_sub_u32_e32 v11, v9, v4
	v_mad_u64_u32 v[3:4], s[2:3], v11, s10, v[3:4]
	v_mul_lo_u32 v9, s13, v9
	v_mul_lo_u32 v4, s12, v12
	;; [unrolled: 1-line block ×4, first 2 shown]
	v_add_u32_e32 v12, s17, v12
	v_sub_u32_e32 v14, v0, v4
	v_add3_u32 v3, s17, v5, v3
	v_sub_u32_e32 v3, v3, v9
	v_sub_u32_e32 v3, v3, v10
	v_mul_lo_u32 v10, s14, v3
	s_branch .LBB49_7
.LBB49_6:                               ;   in Loop: Header=BB49_7 Depth=2
	s_add_i32 s49, s49, 1
	v_add_u32_e32 v10, s45, v10
	s_cmp_eq_u32 s49, s10
	v_add_u32_e32 v11, s16, v11
	s_cbranch_scc1 .LBB49_2
.LBB49_7:                               ;   Parent Loop BB49_4 Depth=1
                                        ; =>  This Loop Header: Depth=2
                                        ;       Child Loop BB49_10 Depth 3
                                        ;         Child Loop BB49_14 Depth 4
	s_andn2_b64 vcc, exec, s[26:27]
	s_cbranch_vccnz .LBB49_6
; %bb.8:                                ;   in Loop: Header=BB49_7 Depth=2
	s_mov_b32 s50, 0
	v_mov_b32_e32 v3, v11
	v_mov_b32_e32 v15, v10
	s_branch .LBB49_10
.LBB49_9:                               ;   in Loop: Header=BB49_10 Depth=3
	s_add_i32 s50, s50, 1
	v_subrev_u32_e32 v15, s46, v15
	s_cmp_eq_u32 s50, s23
	v_add_u32_e32 v3, s48, v3
	s_cbranch_scc1 .LBB49_6
.LBB49_10:                              ;   Parent Loop BB49_4 Depth=1
                                        ;     Parent Loop BB49_7 Depth=2
                                        ; =>    This Loop Header: Depth=3
                                        ;         Child Loop BB49_14 Depth 4
	s_andn2_b64 vcc, exec, s[28:29]
	s_cbranch_vccnz .LBB49_9
; %bb.11:                               ;   in Loop: Header=BB49_10 Depth=3
	v_ashrrev_i32_e32 v4, 31, v3
	v_lshlrev_b64 v[4:5], 1, v[3:4]
	v_mov_b32_e32 v16, s25
	v_add_co_u32_e32 v4, vcc, s24, v4
	s_mul_i32 s2, s19, s50
	v_addc_co_u32_e32 v5, vcc, v16, v5, vcc
	v_add_u32_e32 v16, s2, v9
	v_sub_u32_e32 v16, v12, v16
	v_cmp_lt_i32_e32 vcc, -1, v16
	v_cmp_gt_i32_e64 s[2:3], s15, v16
	s_mov_b32 s51, s22
	v_mov_b32_e32 v16, v14
	s_branch .LBB49_14
.LBB49_12:                              ;   in Loop: Header=BB49_14 Depth=4
	s_or_b64 exec, exec, s[6:7]
.LBB49_13:                              ;   in Loop: Header=BB49_14 Depth=4
	s_or_b64 exec, exec, s[38:39]
	s_add_i32 s51, s51, -1
	v_add_co_u32_e64 v4, s[4:5], 2, v4
	v_subrev_u32_e32 v16, s18, v16
	s_cmp_eq_u32 s51, 0
	v_addc_co_u32_e64 v5, s[4:5], 0, v5, s[4:5]
	s_cbranch_scc1 .LBB49_9
.LBB49_14:                              ;   Parent Loop BB49_4 Depth=1
                                        ;     Parent Loop BB49_7 Depth=2
                                        ;       Parent Loop BB49_10 Depth=3
                                        ; =>      This Inner Loop Header: Depth=4
	s_and_saveexec_b64 s[38:39], vcc
	s_cbranch_execz .LBB49_13
; %bb.15:                               ;   in Loop: Header=BB49_14 Depth=4
	v_cmp_lt_i32_e64 s[4:5], -1, v16
	v_cmp_gt_i32_e64 s[6:7], s14, v16
	s_and_b64 s[4:5], s[4:5], s[6:7]
	s_and_b64 s[4:5], s[2:3], s[4:5]
	s_and_saveexec_b64 s[6:7], s[4:5]
	s_cbranch_execz .LBB49_12
; %bb.16:                               ;   in Loop: Header=BB49_14 Depth=4
	v_add_u32_e32 v17, v15, v16
	v_ashrrev_i32_e32 v18, 31, v17
	v_lshlrev_b64 v[17:18], 1, v[17:18]
	v_mov_b32_e32 v20, s31
	v_add_co_u32_e64 v17, s[4:5], s30, v17
	v_addc_co_u32_e64 v18, s[4:5], v20, v18, s[4:5]
	global_load_ushort v19, v[4:5], off
	s_nop 0
	global_load_ushort v17, v[17:18], off
	s_waitcnt vmcnt(0)
	v_fma_mix_f32 v13, v19, v17, v13 op_sel_hi:[1,1,0]
	s_branch .LBB49_12
.LBB49_17:                              ;   in Loop: Header=BB49_4 Depth=1
	v_mov_b32_e32 v3, 0
	s_branch .LBB49_3
.LBB49_18:
	s_endpgm
	.section	.rodata,"a",@progbits
	.p2align	6, 0x0
	.amdhsa_kernel _ZN2at6native12_GLOBAL__N_132conv_depthwise2d_backward_kernelILi0ELi1EN3c104HalfEiEEvN5torch10headeronly6detail27GenericPackedTensorAccessorINS7_14TensorAccessorINS3_8ArrayRefIlEEKT1_Lm3ENS6_16DefaultPtrTraitsEiEENS_6detail16IndexBoundsCheckILm4EiEESD_Lm4ESE_iEENS8_INS9_ISB_SC_Lm3ESE_iEESI_SC_Lm4ESE_iEESJ_T2_iiiiiiiiiiiiiii
		.amdhsa_group_segment_fixed_size 0
		.amdhsa_private_segment_fixed_size 0
		.amdhsa_kernarg_size 440
		.amdhsa_user_sgpr_count 6
		.amdhsa_user_sgpr_private_segment_buffer 1
		.amdhsa_user_sgpr_dispatch_ptr 0
		.amdhsa_user_sgpr_queue_ptr 0
		.amdhsa_user_sgpr_kernarg_segment_ptr 1
		.amdhsa_user_sgpr_dispatch_id 0
		.amdhsa_user_sgpr_flat_scratch_init 0
		.amdhsa_user_sgpr_private_segment_size 0
		.amdhsa_uses_dynamic_stack 0
		.amdhsa_system_sgpr_private_segment_wavefront_offset 0
		.amdhsa_system_sgpr_workgroup_id_x 1
		.amdhsa_system_sgpr_workgroup_id_y 0
		.amdhsa_system_sgpr_workgroup_id_z 0
		.amdhsa_system_sgpr_workgroup_info 0
		.amdhsa_system_vgpr_workitem_id 0
		.amdhsa_next_free_vgpr 21
		.amdhsa_next_free_sgpr 52
		.amdhsa_reserve_vcc 1
		.amdhsa_reserve_flat_scratch 0
		.amdhsa_float_round_mode_32 0
		.amdhsa_float_round_mode_16_64 0
		.amdhsa_float_denorm_mode_32 3
		.amdhsa_float_denorm_mode_16_64 3
		.amdhsa_dx10_clamp 1
		.amdhsa_ieee_mode 1
		.amdhsa_fp16_overflow 0
		.amdhsa_exception_fp_ieee_invalid_op 0
		.amdhsa_exception_fp_denorm_src 0
		.amdhsa_exception_fp_ieee_div_zero 0
		.amdhsa_exception_fp_ieee_overflow 0
		.amdhsa_exception_fp_ieee_underflow 0
		.amdhsa_exception_fp_ieee_inexact 0
		.amdhsa_exception_int_div_zero 0
	.end_amdhsa_kernel
	.section	.text._ZN2at6native12_GLOBAL__N_132conv_depthwise2d_backward_kernelILi0ELi1EN3c104HalfEiEEvN5torch10headeronly6detail27GenericPackedTensorAccessorINS7_14TensorAccessorINS3_8ArrayRefIlEEKT1_Lm3ENS6_16DefaultPtrTraitsEiEENS_6detail16IndexBoundsCheckILm4EiEESD_Lm4ESE_iEENS8_INS9_ISB_SC_Lm3ESE_iEESI_SC_Lm4ESE_iEESJ_T2_iiiiiiiiiiiiiii,"axG",@progbits,_ZN2at6native12_GLOBAL__N_132conv_depthwise2d_backward_kernelILi0ELi1EN3c104HalfEiEEvN5torch10headeronly6detail27GenericPackedTensorAccessorINS7_14TensorAccessorINS3_8ArrayRefIlEEKT1_Lm3ENS6_16DefaultPtrTraitsEiEENS_6detail16IndexBoundsCheckILm4EiEESD_Lm4ESE_iEENS8_INS9_ISB_SC_Lm3ESE_iEESI_SC_Lm4ESE_iEESJ_T2_iiiiiiiiiiiiiii,comdat
.Lfunc_end49:
	.size	_ZN2at6native12_GLOBAL__N_132conv_depthwise2d_backward_kernelILi0ELi1EN3c104HalfEiEEvN5torch10headeronly6detail27GenericPackedTensorAccessorINS7_14TensorAccessorINS3_8ArrayRefIlEEKT1_Lm3ENS6_16DefaultPtrTraitsEiEENS_6detail16IndexBoundsCheckILm4EiEESD_Lm4ESE_iEENS8_INS9_ISB_SC_Lm3ESE_iEESI_SC_Lm4ESE_iEESJ_T2_iiiiiiiiiiiiiii, .Lfunc_end49-_ZN2at6native12_GLOBAL__N_132conv_depthwise2d_backward_kernelILi0ELi1EN3c104HalfEiEEvN5torch10headeronly6detail27GenericPackedTensorAccessorINS7_14TensorAccessorINS3_8ArrayRefIlEEKT1_Lm3ENS6_16DefaultPtrTraitsEiEENS_6detail16IndexBoundsCheckILm4EiEESD_Lm4ESE_iEENS8_INS9_ISB_SC_Lm3ESE_iEESI_SC_Lm4ESE_iEESJ_T2_iiiiiiiiiiiiiii
                                        ; -- End function
	.set _ZN2at6native12_GLOBAL__N_132conv_depthwise2d_backward_kernelILi0ELi1EN3c104HalfEiEEvN5torch10headeronly6detail27GenericPackedTensorAccessorINS7_14TensorAccessorINS3_8ArrayRefIlEEKT1_Lm3ENS6_16DefaultPtrTraitsEiEENS_6detail16IndexBoundsCheckILm4EiEESD_Lm4ESE_iEENS8_INS9_ISB_SC_Lm3ESE_iEESI_SC_Lm4ESE_iEESJ_T2_iiiiiiiiiiiiiii.num_vgpr, 21
	.set _ZN2at6native12_GLOBAL__N_132conv_depthwise2d_backward_kernelILi0ELi1EN3c104HalfEiEEvN5torch10headeronly6detail27GenericPackedTensorAccessorINS7_14TensorAccessorINS3_8ArrayRefIlEEKT1_Lm3ENS6_16DefaultPtrTraitsEiEENS_6detail16IndexBoundsCheckILm4EiEESD_Lm4ESE_iEENS8_INS9_ISB_SC_Lm3ESE_iEESI_SC_Lm4ESE_iEESJ_T2_iiiiiiiiiiiiiii.num_agpr, 0
	.set _ZN2at6native12_GLOBAL__N_132conv_depthwise2d_backward_kernelILi0ELi1EN3c104HalfEiEEvN5torch10headeronly6detail27GenericPackedTensorAccessorINS7_14TensorAccessorINS3_8ArrayRefIlEEKT1_Lm3ENS6_16DefaultPtrTraitsEiEENS_6detail16IndexBoundsCheckILm4EiEESD_Lm4ESE_iEENS8_INS9_ISB_SC_Lm3ESE_iEESI_SC_Lm4ESE_iEESJ_T2_iiiiiiiiiiiiiii.numbered_sgpr, 52
	.set _ZN2at6native12_GLOBAL__N_132conv_depthwise2d_backward_kernelILi0ELi1EN3c104HalfEiEEvN5torch10headeronly6detail27GenericPackedTensorAccessorINS7_14TensorAccessorINS3_8ArrayRefIlEEKT1_Lm3ENS6_16DefaultPtrTraitsEiEENS_6detail16IndexBoundsCheckILm4EiEESD_Lm4ESE_iEENS8_INS9_ISB_SC_Lm3ESE_iEESI_SC_Lm4ESE_iEESJ_T2_iiiiiiiiiiiiiii.num_named_barrier, 0
	.set _ZN2at6native12_GLOBAL__N_132conv_depthwise2d_backward_kernelILi0ELi1EN3c104HalfEiEEvN5torch10headeronly6detail27GenericPackedTensorAccessorINS7_14TensorAccessorINS3_8ArrayRefIlEEKT1_Lm3ENS6_16DefaultPtrTraitsEiEENS_6detail16IndexBoundsCheckILm4EiEESD_Lm4ESE_iEENS8_INS9_ISB_SC_Lm3ESE_iEESI_SC_Lm4ESE_iEESJ_T2_iiiiiiiiiiiiiii.private_seg_size, 0
	.set _ZN2at6native12_GLOBAL__N_132conv_depthwise2d_backward_kernelILi0ELi1EN3c104HalfEiEEvN5torch10headeronly6detail27GenericPackedTensorAccessorINS7_14TensorAccessorINS3_8ArrayRefIlEEKT1_Lm3ENS6_16DefaultPtrTraitsEiEENS_6detail16IndexBoundsCheckILm4EiEESD_Lm4ESE_iEENS8_INS9_ISB_SC_Lm3ESE_iEESI_SC_Lm4ESE_iEESJ_T2_iiiiiiiiiiiiiii.uses_vcc, 1
	.set _ZN2at6native12_GLOBAL__N_132conv_depthwise2d_backward_kernelILi0ELi1EN3c104HalfEiEEvN5torch10headeronly6detail27GenericPackedTensorAccessorINS7_14TensorAccessorINS3_8ArrayRefIlEEKT1_Lm3ENS6_16DefaultPtrTraitsEiEENS_6detail16IndexBoundsCheckILm4EiEESD_Lm4ESE_iEENS8_INS9_ISB_SC_Lm3ESE_iEESI_SC_Lm4ESE_iEESJ_T2_iiiiiiiiiiiiiii.uses_flat_scratch, 0
	.set _ZN2at6native12_GLOBAL__N_132conv_depthwise2d_backward_kernelILi0ELi1EN3c104HalfEiEEvN5torch10headeronly6detail27GenericPackedTensorAccessorINS7_14TensorAccessorINS3_8ArrayRefIlEEKT1_Lm3ENS6_16DefaultPtrTraitsEiEENS_6detail16IndexBoundsCheckILm4EiEESD_Lm4ESE_iEENS8_INS9_ISB_SC_Lm3ESE_iEESI_SC_Lm4ESE_iEESJ_T2_iiiiiiiiiiiiiii.has_dyn_sized_stack, 0
	.set _ZN2at6native12_GLOBAL__N_132conv_depthwise2d_backward_kernelILi0ELi1EN3c104HalfEiEEvN5torch10headeronly6detail27GenericPackedTensorAccessorINS7_14TensorAccessorINS3_8ArrayRefIlEEKT1_Lm3ENS6_16DefaultPtrTraitsEiEENS_6detail16IndexBoundsCheckILm4EiEESD_Lm4ESE_iEENS8_INS9_ISB_SC_Lm3ESE_iEESI_SC_Lm4ESE_iEESJ_T2_iiiiiiiiiiiiiii.has_recursion, 0
	.set _ZN2at6native12_GLOBAL__N_132conv_depthwise2d_backward_kernelILi0ELi1EN3c104HalfEiEEvN5torch10headeronly6detail27GenericPackedTensorAccessorINS7_14TensorAccessorINS3_8ArrayRefIlEEKT1_Lm3ENS6_16DefaultPtrTraitsEiEENS_6detail16IndexBoundsCheckILm4EiEESD_Lm4ESE_iEENS8_INS9_ISB_SC_Lm3ESE_iEESI_SC_Lm4ESE_iEESJ_T2_iiiiiiiiiiiiiii.has_indirect_call, 0
	.section	.AMDGPU.csdata,"",@progbits
; Kernel info:
; codeLenInByte = 1068
; TotalNumSgprs: 56
; NumVgprs: 21
; ScratchSize: 0
; MemoryBound: 0
; FloatMode: 240
; IeeeMode: 1
; LDSByteSize: 0 bytes/workgroup (compile time only)
; SGPRBlocks: 6
; VGPRBlocks: 5
; NumSGPRsForWavesPerEU: 56
; NumVGPRsForWavesPerEU: 21
; Occupancy: 10
; WaveLimiterHint : 0
; COMPUTE_PGM_RSRC2:SCRATCH_EN: 0
; COMPUTE_PGM_RSRC2:USER_SGPR: 6
; COMPUTE_PGM_RSRC2:TRAP_HANDLER: 0
; COMPUTE_PGM_RSRC2:TGID_X_EN: 1
; COMPUTE_PGM_RSRC2:TGID_Y_EN: 0
; COMPUTE_PGM_RSRC2:TGID_Z_EN: 0
; COMPUTE_PGM_RSRC2:TIDIG_COMP_CNT: 0
	.section	.text._ZN2at6native12_GLOBAL__N_132conv_depthwise2d_backward_kernelILi0ELi2EN3c104HalfEiEEvN5torch10headeronly6detail27GenericPackedTensorAccessorINS7_14TensorAccessorINS3_8ArrayRefIlEEKT1_Lm3ENS6_16DefaultPtrTraitsEiEENS_6detail16IndexBoundsCheckILm4EiEESD_Lm4ESE_iEENS8_INS9_ISB_SC_Lm3ESE_iEESI_SC_Lm4ESE_iEESJ_T2_iiiiiiiiiiiiiii,"axG",@progbits,_ZN2at6native12_GLOBAL__N_132conv_depthwise2d_backward_kernelILi0ELi2EN3c104HalfEiEEvN5torch10headeronly6detail27GenericPackedTensorAccessorINS7_14TensorAccessorINS3_8ArrayRefIlEEKT1_Lm3ENS6_16DefaultPtrTraitsEiEENS_6detail16IndexBoundsCheckILm4EiEESD_Lm4ESE_iEENS8_INS9_ISB_SC_Lm3ESE_iEESI_SC_Lm4ESE_iEESJ_T2_iiiiiiiiiiiiiii,comdat
	.globl	_ZN2at6native12_GLOBAL__N_132conv_depthwise2d_backward_kernelILi0ELi2EN3c104HalfEiEEvN5torch10headeronly6detail27GenericPackedTensorAccessorINS7_14TensorAccessorINS3_8ArrayRefIlEEKT1_Lm3ENS6_16DefaultPtrTraitsEiEENS_6detail16IndexBoundsCheckILm4EiEESD_Lm4ESE_iEENS8_INS9_ISB_SC_Lm3ESE_iEESI_SC_Lm4ESE_iEESJ_T2_iiiiiiiiiiiiiii ; -- Begin function _ZN2at6native12_GLOBAL__N_132conv_depthwise2d_backward_kernelILi0ELi2EN3c104HalfEiEEvN5torch10headeronly6detail27GenericPackedTensorAccessorINS7_14TensorAccessorINS3_8ArrayRefIlEEKT1_Lm3ENS6_16DefaultPtrTraitsEiEENS_6detail16IndexBoundsCheckILm4EiEESD_Lm4ESE_iEENS8_INS9_ISB_SC_Lm3ESE_iEESI_SC_Lm4ESE_iEESJ_T2_iiiiiiiiiiiiiii
	.p2align	8
	.type	_ZN2at6native12_GLOBAL__N_132conv_depthwise2d_backward_kernelILi0ELi2EN3c104HalfEiEEvN5torch10headeronly6detail27GenericPackedTensorAccessorINS7_14TensorAccessorINS3_8ArrayRefIlEEKT1_Lm3ENS6_16DefaultPtrTraitsEiEENS_6detail16IndexBoundsCheckILm4EiEESD_Lm4ESE_iEENS8_INS9_ISB_SC_Lm3ESE_iEESI_SC_Lm4ESE_iEESJ_T2_iiiiiiiiiiiiiii,@function
_ZN2at6native12_GLOBAL__N_132conv_depthwise2d_backward_kernelILi0ELi2EN3c104HalfEiEEvN5torch10headeronly6detail27GenericPackedTensorAccessorINS7_14TensorAccessorINS3_8ArrayRefIlEEKT1_Lm3ENS6_16DefaultPtrTraitsEiEENS_6detail16IndexBoundsCheckILm4EiEESD_Lm4ESE_iEENS8_INS9_ISB_SC_Lm3ESE_iEESI_SC_Lm4ESE_iEESJ_T2_iiiiiiiiiiiiiii: ; @_ZN2at6native12_GLOBAL__N_132conv_depthwise2d_backward_kernelILi0ELi2EN3c104HalfEiEEvN5torch10headeronly6detail27GenericPackedTensorAccessorINS7_14TensorAccessorINS3_8ArrayRefIlEEKT1_Lm3ENS6_16DefaultPtrTraitsEiEENS_6detail16IndexBoundsCheckILm4EiEESD_Lm4ESE_iEENS8_INS9_ISB_SC_Lm3ESE_iEESI_SC_Lm4ESE_iEESJ_T2_iiiiiiiiiiiiiii
; %bb.0:
	s_load_dword s2, s[4:5], 0xc4
	s_load_dwordx8 s[12:19], s[4:5], 0x78
	s_add_u32 s0, s4, 0xb8
	s_addc_u32 s1, s5, 0
	v_mov_b32_e32 v1, 0
	s_waitcnt lgkmcnt(0)
	s_and_b32 s2, s2, 0xffff
	v_mov_b32_e32 v2, s6
	v_mad_u64_u32 v[1:2], s[8:9], s2, v2, v[0:1]
	s_ashr_i32 s11, s12, 31
	s_mov_b32 s10, s12
	v_cmp_gt_i64_e32 vcc, s[10:11], v[1:2]
	s_and_saveexec_b64 s[8:9], vcc
	s_cbranch_execz .LBB50_20
; %bb.1:
	s_load_dwordx2 s[24:25], s[4:5], 0x98
	s_load_dwordx2 s[26:27], s[4:5], 0x50
	s_cmp_gt_i32 s14, 0
	s_cselect_b64 s[8:9], -1, 0
	s_load_dwordx2 s[34:35], s[4:5], 0x0
	s_load_dwordx2 s[36:37], s[4:5], 0x28
	s_waitcnt lgkmcnt(0)
	s_cmp_gt_i32 s25, 0
	s_cselect_b64 s[28:29], -1, 0
	s_cmp_gt_i32 s24, 0
	s_cselect_b64 s[30:31], -1, 0
	s_abs_i32 s12, s16
	v_cvt_f32_u32_e32 v3, s12
	s_abs_i32 s33, s17
	v_cvt_f32_u32_e32 v4, s33
	s_abs_i32 s44, s13
	v_rcp_iflag_f32_e32 v3, v3
	v_cvt_f32_u32_e32 v5, s44
	v_rcp_iflag_f32_e32 v4, v4
	s_load_dwordx4 s[20:23], s[4:5], 0xa8
	s_load_dword s3, s[0:1], 0x0
	v_mul_f32_e32 v3, 0x4f7ffffe, v3
	v_rcp_iflag_f32_e32 v5, v5
	v_cvt_u32_f32_e32 v3, v3
	v_mul_f32_e32 v4, 0x4f7ffffe, v4
	s_sub_i32 s0, 0, s12
	v_cvt_u32_f32_e32 v4, v4
	v_mul_f32_e32 v5, 0x4f7ffffe, v5
	v_mul_lo_u32 v6, s0, v3
	v_cvt_u32_f32_e32 v5, v5
	s_sub_i32 s0, 0, s33
	v_mul_lo_u32 v7, s0, v4
	s_sub_i32 s0, 0, s44
	v_mul_hi_u32 v6, v3, v6
	v_mul_lo_u32 v8, s0, v5
	v_mul_hi_u32 v7, v4, v7
	s_mul_i32 s0, s6, s2
	v_add_u32_e32 v6, v3, v6
	v_mul_hi_u32 v3, v5, v8
	s_waitcnt lgkmcnt(0)
	s_add_i32 s0, s0, s20
	s_mul_i32 s20, s25, s24
	s_mul_i32 s45, s3, s2
	v_add_u32_e32 v8, v5, v3
	v_cndmask_b32_e64 v3, 0, 1, s[8:9]
	s_ashr_i32 s46, s16, 31
	s_ashr_i32 s47, s17, 31
	v_add_u32_e32 v7, v4, v7
	s_ashr_i32 s48, s13, 31
	v_add_u32_e32 v0, s0, v0
	s_mul_i32 s49, s20, s14
	s_max_i32 s50, s24, 0
	s_mov_b64 s[38:39], 0
	v_cmp_ne_u32_e64 s[0:1], 1, v3
	s_branch .LBB50_4
.LBB50_2:                               ;   in Loop: Header=BB50_4 Depth=1
	v_cvt_f16_f32_e32 v3, v14
.LBB50_3:                               ;   in Loop: Header=BB50_4 Depth=1
	v_lshlrev_b64 v[4:5], 1, v[1:2]
	v_mov_b32_e32 v9, s37
	v_add_co_u32_e32 v4, vcc, s36, v4
	v_addc_co_u32_e32 v5, vcc, v9, v5, vcc
	v_add_co_u32_e32 v1, vcc, s45, v1
	v_addc_co_u32_e32 v2, vcc, 0, v2, vcc
	v_cmp_le_i64_e32 vcc, s[10:11], v[1:2]
	v_add_u32_e32 v0, s45, v0
	s_or_b64 s[38:39], vcc, s[38:39]
	global_store_short v[4:5], v3, off
	s_andn2_b64 exec, exec, s[38:39]
	s_cbranch_execz .LBB50_20
.LBB50_4:                               ; =>This Loop Header: Depth=1
                                        ;     Child Loop BB50_7 Depth 2
                                        ;       Child Loop BB50_10 Depth 3
                                        ;         Child Loop BB50_15 Depth 4
	s_and_b64 vcc, exec, s[0:1]
	s_cbranch_vccnz .LBB50_19
; %bb.5:                                ;   in Loop: Header=BB50_4 Depth=1
	v_sub_u32_e32 v3, 0, v1
	v_max_i32_e32 v3, v1, v3
	v_mul_hi_u32 v4, v3, v6
	v_ashrrev_i32_e32 v9, 31, v1
	v_xor_b32_e32 v9, s46, v9
	s_mov_b32 s51, 0
	v_mul_lo_u32 v5, v4, s12
	v_add_u32_e32 v10, 1, v4
	v_sub_u32_e32 v3, v3, v5
	v_cmp_le_u32_e32 vcc, s12, v3
	v_subrev_u32_e32 v5, s12, v3
	v_cndmask_b32_e32 v4, v4, v10, vcc
	v_cndmask_b32_e32 v3, v3, v5, vcc
	v_add_u32_e32 v5, 1, v4
	v_cmp_le_u32_e32 vcc, s12, v3
	v_cndmask_b32_e32 v3, v4, v5, vcc
	v_xor_b32_e32 v3, v3, v9
	v_sub_u32_e32 v3, v3, v9
	v_sub_u32_e32 v4, 0, v3
	v_max_i32_e32 v4, v3, v4
	v_mul_hi_u32 v5, v4, v7
	v_ashrrev_i32_e32 v10, 31, v3
	v_xor_b32_e32 v10, s47, v10
	v_mul_lo_u32 v14, s16, v3
	v_mul_lo_u32 v9, v5, s33
	v_add_u32_e32 v11, 1, v5
	v_add_u32_e32 v13, s21, v3
	v_sub_u32_e32 v15, v0, v14
	v_sub_u32_e32 v4, v4, v9
	v_cmp_le_u32_e32 vcc, s33, v4
	v_subrev_u32_e32 v9, s33, v4
	v_cndmask_b32_e32 v5, v5, v11, vcc
	v_cndmask_b32_e32 v4, v4, v9, vcc
	v_add_u32_e32 v9, 1, v5
	v_cmp_le_u32_e32 vcc, s33, v4
	v_cndmask_b32_e32 v4, v5, v9, vcc
	v_xor_b32_e32 v4, v4, v10
	v_sub_u32_e32 v4, v4, v10
	v_sub_u32_e32 v5, 0, v4
	v_max_i32_e32 v5, v4, v5
	v_mul_hi_u32 v9, v5, v8
	v_ashrrev_i32_e32 v11, 31, v4
	v_xor_b32_e32 v11, s48, v11
	v_mov_b32_e32 v14, 0
	v_mul_lo_u32 v10, v9, s44
	v_add_u32_e32 v12, 1, v9
	v_sub_u32_e32 v5, v5, v10
	v_cmp_le_u32_e32 vcc, s44, v5
	v_subrev_u32_e32 v10, s44, v5
	v_cndmask_b32_e32 v9, v9, v12, vcc
	v_cndmask_b32_e32 v5, v5, v10, vcc
	v_add_u32_e32 v10, 1, v9
	v_cmp_le_u32_e32 vcc, s44, v5
	v_cndmask_b32_e32 v5, v9, v10, vcc
	v_xor_b32_e32 v5, v5, v11
	v_sub_u32_e32 v5, v5, v11
	v_mul_lo_u32 v10, v5, s13
	v_mul_lo_u32 v9, s17, v4
	;; [unrolled: 1-line block ×3, first 2 shown]
	v_sub_u32_e32 v4, v4, v10
	v_mul_lo_u32 v10, v4, s14
	v_mul_lo_u32 v12, s49, v4
	s_branch .LBB50_7
.LBB50_6:                               ;   in Loop: Header=BB50_7 Depth=2
	s_add_i32 s51, s51, 1
	s_cmp_eq_u32 s51, s14
	v_add_u32_e32 v12, s20, v12
	s_cbranch_scc1 .LBB50_2
.LBB50_7:                               ;   Parent Loop BB50_4 Depth=1
                                        ; =>  This Loop Header: Depth=2
                                        ;       Child Loop BB50_10 Depth 3
                                        ;         Child Loop BB50_15 Depth 4
	s_andn2_b64 vcc, exec, s[28:29]
	s_cbranch_vccnz .LBB50_6
; %bb.8:                                ;   in Loop: Header=BB50_7 Depth=2
	v_add3_u32 v3, s51, v10, v11
	v_mul_lo_u32 v16, v3, s19
	s_mov_b32 s52, 0
	v_mov_b32_e32 v3, v12
	s_branch .LBB50_10
.LBB50_9:                               ;   in Loop: Header=BB50_10 Depth=3
	s_add_i32 s52, s52, 1
	s_cmp_eq_u32 s52, s25
	v_add_u32_e32 v3, s50, v3
	s_cbranch_scc1 .LBB50_6
.LBB50_10:                              ;   Parent Loop BB50_4 Depth=1
                                        ;     Parent Loop BB50_7 Depth=2
                                        ; =>    This Loop Header: Depth=3
                                        ;         Child Loop BB50_15 Depth 4
	s_andn2_b64 vcc, exec, s[30:31]
	s_cbranch_vccnz .LBB50_9
; %bb.11:                               ;   in Loop: Header=BB50_10 Depth=3
	v_ashrrev_i32_e32 v4, 31, v3
	v_lshlrev_b64 v[4:5], 1, v[3:4]
	v_mov_b32_e32 v17, s27
	v_add_co_u32_e32 v4, vcc, s26, v4
	s_mul_i32 s2, s23, s52
	v_addc_co_u32_e32 v5, vcc, v17, v5, vcc
	v_add_u32_e32 v17, s2, v9
	v_sub_u32_e32 v17, v13, v17
	v_and_b32_e32 v18, 1, v17
	v_cmp_eq_u32_e32 vcc, 0, v18
	v_ashrrev_i32_e32 v18, 1, v17
	v_add_u32_e32 v17, v18, v16
	v_mul_lo_u32 v17, v17, s18
	v_cmp_lt_i32_e64 s[2:3], -1, v18
	v_cmp_gt_i32_e64 s[4:5], s19, v18
	s_mov_b32 s53, s24
	v_mov_b32_e32 v18, v15
	s_branch .LBB50_15
.LBB50_12:                              ;   in Loop: Header=BB50_15 Depth=4
	s_or_b64 exec, exec, s[8:9]
.LBB50_13:                              ;   in Loop: Header=BB50_15 Depth=4
	s_or_b64 exec, exec, s[42:43]
.LBB50_14:                              ;   in Loop: Header=BB50_15 Depth=4
	s_or_b64 exec, exec, s[40:41]
	s_add_i32 s53, s53, -1
	v_add_co_u32_e64 v4, s[6:7], 2, v4
	v_subrev_u32_e32 v18, s22, v18
	s_cmp_eq_u32 s53, 0
	v_addc_co_u32_e64 v5, s[6:7], 0, v5, s[6:7]
	s_cbranch_scc1 .LBB50_9
.LBB50_15:                              ;   Parent Loop BB50_4 Depth=1
                                        ;     Parent Loop BB50_7 Depth=2
                                        ;       Parent Loop BB50_10 Depth=3
                                        ; =>      This Inner Loop Header: Depth=4
	v_and_b32_e32 v19, 1, v18
	v_cmp_eq_u32_e64 s[6:7], 0, v19
	s_and_b64 s[6:7], vcc, s[6:7]
	s_and_saveexec_b64 s[40:41], s[6:7]
	s_cbranch_execz .LBB50_14
; %bb.16:                               ;   in Loop: Header=BB50_15 Depth=4
	s_and_saveexec_b64 s[42:43], s[2:3]
	s_cbranch_execz .LBB50_13
; %bb.17:                               ;   in Loop: Header=BB50_15 Depth=4
	v_ashrrev_i32_e32 v19, 1, v18
	v_cmp_lt_i32_e64 s[6:7], -1, v19
	v_cmp_gt_i32_e64 s[8:9], s18, v19
	s_and_b64 s[6:7], s[6:7], s[8:9]
	s_and_b64 s[6:7], s[4:5], s[6:7]
	s_and_saveexec_b64 s[8:9], s[6:7]
	s_cbranch_execz .LBB50_12
; %bb.18:                               ;   in Loop: Header=BB50_15 Depth=4
	v_add_u32_e32 v19, v19, v17
	v_ashrrev_i32_e32 v20, 31, v19
	v_lshlrev_b64 v[19:20], 1, v[19:20]
	v_mov_b32_e32 v22, s35
	v_add_co_u32_e64 v19, s[6:7], s34, v19
	v_addc_co_u32_e64 v20, s[6:7], v22, v20, s[6:7]
	global_load_ushort v21, v[4:5], off
	s_nop 0
	global_load_ushort v19, v[19:20], off
	s_waitcnt vmcnt(0)
	v_fma_mix_f32 v14, v21, v19, v14 op_sel_hi:[1,1,0]
	s_branch .LBB50_12
.LBB50_19:                              ;   in Loop: Header=BB50_4 Depth=1
	v_mov_b32_e32 v3, 0
	s_branch .LBB50_3
.LBB50_20:
	s_endpgm
	.section	.rodata,"a",@progbits
	.p2align	6, 0x0
	.amdhsa_kernel _ZN2at6native12_GLOBAL__N_132conv_depthwise2d_backward_kernelILi0ELi2EN3c104HalfEiEEvN5torch10headeronly6detail27GenericPackedTensorAccessorINS7_14TensorAccessorINS3_8ArrayRefIlEEKT1_Lm3ENS6_16DefaultPtrTraitsEiEENS_6detail16IndexBoundsCheckILm4EiEESD_Lm4ESE_iEENS8_INS9_ISB_SC_Lm3ESE_iEESI_SC_Lm4ESE_iEESJ_T2_iiiiiiiiiiiiiii
		.amdhsa_group_segment_fixed_size 0
		.amdhsa_private_segment_fixed_size 0
		.amdhsa_kernarg_size 440
		.amdhsa_user_sgpr_count 6
		.amdhsa_user_sgpr_private_segment_buffer 1
		.amdhsa_user_sgpr_dispatch_ptr 0
		.amdhsa_user_sgpr_queue_ptr 0
		.amdhsa_user_sgpr_kernarg_segment_ptr 1
		.amdhsa_user_sgpr_dispatch_id 0
		.amdhsa_user_sgpr_flat_scratch_init 0
		.amdhsa_user_sgpr_private_segment_size 0
		.amdhsa_uses_dynamic_stack 0
		.amdhsa_system_sgpr_private_segment_wavefront_offset 0
		.amdhsa_system_sgpr_workgroup_id_x 1
		.amdhsa_system_sgpr_workgroup_id_y 0
		.amdhsa_system_sgpr_workgroup_id_z 0
		.amdhsa_system_sgpr_workgroup_info 0
		.amdhsa_system_vgpr_workitem_id 0
		.amdhsa_next_free_vgpr 23
		.amdhsa_next_free_sgpr 54
		.amdhsa_reserve_vcc 1
		.amdhsa_reserve_flat_scratch 0
		.amdhsa_float_round_mode_32 0
		.amdhsa_float_round_mode_16_64 0
		.amdhsa_float_denorm_mode_32 3
		.amdhsa_float_denorm_mode_16_64 3
		.amdhsa_dx10_clamp 1
		.amdhsa_ieee_mode 1
		.amdhsa_fp16_overflow 0
		.amdhsa_exception_fp_ieee_invalid_op 0
		.amdhsa_exception_fp_denorm_src 0
		.amdhsa_exception_fp_ieee_div_zero 0
		.amdhsa_exception_fp_ieee_overflow 0
		.amdhsa_exception_fp_ieee_underflow 0
		.amdhsa_exception_fp_ieee_inexact 0
		.amdhsa_exception_int_div_zero 0
	.end_amdhsa_kernel
	.section	.text._ZN2at6native12_GLOBAL__N_132conv_depthwise2d_backward_kernelILi0ELi2EN3c104HalfEiEEvN5torch10headeronly6detail27GenericPackedTensorAccessorINS7_14TensorAccessorINS3_8ArrayRefIlEEKT1_Lm3ENS6_16DefaultPtrTraitsEiEENS_6detail16IndexBoundsCheckILm4EiEESD_Lm4ESE_iEENS8_INS9_ISB_SC_Lm3ESE_iEESI_SC_Lm4ESE_iEESJ_T2_iiiiiiiiiiiiiii,"axG",@progbits,_ZN2at6native12_GLOBAL__N_132conv_depthwise2d_backward_kernelILi0ELi2EN3c104HalfEiEEvN5torch10headeronly6detail27GenericPackedTensorAccessorINS7_14TensorAccessorINS3_8ArrayRefIlEEKT1_Lm3ENS6_16DefaultPtrTraitsEiEENS_6detail16IndexBoundsCheckILm4EiEESD_Lm4ESE_iEENS8_INS9_ISB_SC_Lm3ESE_iEESI_SC_Lm4ESE_iEESJ_T2_iiiiiiiiiiiiiii,comdat
.Lfunc_end50:
	.size	_ZN2at6native12_GLOBAL__N_132conv_depthwise2d_backward_kernelILi0ELi2EN3c104HalfEiEEvN5torch10headeronly6detail27GenericPackedTensorAccessorINS7_14TensorAccessorINS3_8ArrayRefIlEEKT1_Lm3ENS6_16DefaultPtrTraitsEiEENS_6detail16IndexBoundsCheckILm4EiEESD_Lm4ESE_iEENS8_INS9_ISB_SC_Lm3ESE_iEESI_SC_Lm4ESE_iEESJ_T2_iiiiiiiiiiiiiii, .Lfunc_end50-_ZN2at6native12_GLOBAL__N_132conv_depthwise2d_backward_kernelILi0ELi2EN3c104HalfEiEEvN5torch10headeronly6detail27GenericPackedTensorAccessorINS7_14TensorAccessorINS3_8ArrayRefIlEEKT1_Lm3ENS6_16DefaultPtrTraitsEiEENS_6detail16IndexBoundsCheckILm4EiEESD_Lm4ESE_iEENS8_INS9_ISB_SC_Lm3ESE_iEESI_SC_Lm4ESE_iEESJ_T2_iiiiiiiiiiiiiii
                                        ; -- End function
	.set _ZN2at6native12_GLOBAL__N_132conv_depthwise2d_backward_kernelILi0ELi2EN3c104HalfEiEEvN5torch10headeronly6detail27GenericPackedTensorAccessorINS7_14TensorAccessorINS3_8ArrayRefIlEEKT1_Lm3ENS6_16DefaultPtrTraitsEiEENS_6detail16IndexBoundsCheckILm4EiEESD_Lm4ESE_iEENS8_INS9_ISB_SC_Lm3ESE_iEESI_SC_Lm4ESE_iEESJ_T2_iiiiiiiiiiiiiii.num_vgpr, 23
	.set _ZN2at6native12_GLOBAL__N_132conv_depthwise2d_backward_kernelILi0ELi2EN3c104HalfEiEEvN5torch10headeronly6detail27GenericPackedTensorAccessorINS7_14TensorAccessorINS3_8ArrayRefIlEEKT1_Lm3ENS6_16DefaultPtrTraitsEiEENS_6detail16IndexBoundsCheckILm4EiEESD_Lm4ESE_iEENS8_INS9_ISB_SC_Lm3ESE_iEESI_SC_Lm4ESE_iEESJ_T2_iiiiiiiiiiiiiii.num_agpr, 0
	.set _ZN2at6native12_GLOBAL__N_132conv_depthwise2d_backward_kernelILi0ELi2EN3c104HalfEiEEvN5torch10headeronly6detail27GenericPackedTensorAccessorINS7_14TensorAccessorINS3_8ArrayRefIlEEKT1_Lm3ENS6_16DefaultPtrTraitsEiEENS_6detail16IndexBoundsCheckILm4EiEESD_Lm4ESE_iEENS8_INS9_ISB_SC_Lm3ESE_iEESI_SC_Lm4ESE_iEESJ_T2_iiiiiiiiiiiiiii.numbered_sgpr, 54
	.set _ZN2at6native12_GLOBAL__N_132conv_depthwise2d_backward_kernelILi0ELi2EN3c104HalfEiEEvN5torch10headeronly6detail27GenericPackedTensorAccessorINS7_14TensorAccessorINS3_8ArrayRefIlEEKT1_Lm3ENS6_16DefaultPtrTraitsEiEENS_6detail16IndexBoundsCheckILm4EiEESD_Lm4ESE_iEENS8_INS9_ISB_SC_Lm3ESE_iEESI_SC_Lm4ESE_iEESJ_T2_iiiiiiiiiiiiiii.num_named_barrier, 0
	.set _ZN2at6native12_GLOBAL__N_132conv_depthwise2d_backward_kernelILi0ELi2EN3c104HalfEiEEvN5torch10headeronly6detail27GenericPackedTensorAccessorINS7_14TensorAccessorINS3_8ArrayRefIlEEKT1_Lm3ENS6_16DefaultPtrTraitsEiEENS_6detail16IndexBoundsCheckILm4EiEESD_Lm4ESE_iEENS8_INS9_ISB_SC_Lm3ESE_iEESI_SC_Lm4ESE_iEESJ_T2_iiiiiiiiiiiiiii.private_seg_size, 0
	.set _ZN2at6native12_GLOBAL__N_132conv_depthwise2d_backward_kernelILi0ELi2EN3c104HalfEiEEvN5torch10headeronly6detail27GenericPackedTensorAccessorINS7_14TensorAccessorINS3_8ArrayRefIlEEKT1_Lm3ENS6_16DefaultPtrTraitsEiEENS_6detail16IndexBoundsCheckILm4EiEESD_Lm4ESE_iEENS8_INS9_ISB_SC_Lm3ESE_iEESI_SC_Lm4ESE_iEESJ_T2_iiiiiiiiiiiiiii.uses_vcc, 1
	.set _ZN2at6native12_GLOBAL__N_132conv_depthwise2d_backward_kernelILi0ELi2EN3c104HalfEiEEvN5torch10headeronly6detail27GenericPackedTensorAccessorINS7_14TensorAccessorINS3_8ArrayRefIlEEKT1_Lm3ENS6_16DefaultPtrTraitsEiEENS_6detail16IndexBoundsCheckILm4EiEESD_Lm4ESE_iEENS8_INS9_ISB_SC_Lm3ESE_iEESI_SC_Lm4ESE_iEESJ_T2_iiiiiiiiiiiiiii.uses_flat_scratch, 0
	.set _ZN2at6native12_GLOBAL__N_132conv_depthwise2d_backward_kernelILi0ELi2EN3c104HalfEiEEvN5torch10headeronly6detail27GenericPackedTensorAccessorINS7_14TensorAccessorINS3_8ArrayRefIlEEKT1_Lm3ENS6_16DefaultPtrTraitsEiEENS_6detail16IndexBoundsCheckILm4EiEESD_Lm4ESE_iEENS8_INS9_ISB_SC_Lm3ESE_iEESI_SC_Lm4ESE_iEESJ_T2_iiiiiiiiiiiiiii.has_dyn_sized_stack, 0
	.set _ZN2at6native12_GLOBAL__N_132conv_depthwise2d_backward_kernelILi0ELi2EN3c104HalfEiEEvN5torch10headeronly6detail27GenericPackedTensorAccessorINS7_14TensorAccessorINS3_8ArrayRefIlEEKT1_Lm3ENS6_16DefaultPtrTraitsEiEENS_6detail16IndexBoundsCheckILm4EiEESD_Lm4ESE_iEENS8_INS9_ISB_SC_Lm3ESE_iEESI_SC_Lm4ESE_iEESJ_T2_iiiiiiiiiiiiiii.has_recursion, 0
	.set _ZN2at6native12_GLOBAL__N_132conv_depthwise2d_backward_kernelILi0ELi2EN3c104HalfEiEEvN5torch10headeronly6detail27GenericPackedTensorAccessorINS7_14TensorAccessorINS3_8ArrayRefIlEEKT1_Lm3ENS6_16DefaultPtrTraitsEiEENS_6detail16IndexBoundsCheckILm4EiEESD_Lm4ESE_iEENS8_INS9_ISB_SC_Lm3ESE_iEESI_SC_Lm4ESE_iEESJ_T2_iiiiiiiiiiiiiii.has_indirect_call, 0
	.section	.AMDGPU.csdata,"",@progbits
; Kernel info:
; codeLenInByte = 1092
; TotalNumSgprs: 58
; NumVgprs: 23
; ScratchSize: 0
; MemoryBound: 0
; FloatMode: 240
; IeeeMode: 1
; LDSByteSize: 0 bytes/workgroup (compile time only)
; SGPRBlocks: 7
; VGPRBlocks: 5
; NumSGPRsForWavesPerEU: 58
; NumVGPRsForWavesPerEU: 23
; Occupancy: 10
; WaveLimiterHint : 0
; COMPUTE_PGM_RSRC2:SCRATCH_EN: 0
; COMPUTE_PGM_RSRC2:USER_SGPR: 6
; COMPUTE_PGM_RSRC2:TRAP_HANDLER: 0
; COMPUTE_PGM_RSRC2:TGID_X_EN: 1
; COMPUTE_PGM_RSRC2:TGID_Y_EN: 0
; COMPUTE_PGM_RSRC2:TGID_Z_EN: 0
; COMPUTE_PGM_RSRC2:TIDIG_COMP_CNT: 0
	.section	.text._ZN2at6native12_GLOBAL__N_132conv_depthwise2d_backward_kernelILi0ELi0EN3c104HalfEiEEvN5torch10headeronly6detail27GenericPackedTensorAccessorINS7_14TensorAccessorINS3_8ArrayRefIlEEKT1_Lm3ENS6_16DefaultPtrTraitsEiEENS_6detail16IndexBoundsCheckILm4EiEESD_Lm4ESE_iEENS8_INS9_ISB_SC_Lm3ESE_iEESI_SC_Lm4ESE_iEESJ_T2_iiiiiiiiiiiiiii,"axG",@progbits,_ZN2at6native12_GLOBAL__N_132conv_depthwise2d_backward_kernelILi0ELi0EN3c104HalfEiEEvN5torch10headeronly6detail27GenericPackedTensorAccessorINS7_14TensorAccessorINS3_8ArrayRefIlEEKT1_Lm3ENS6_16DefaultPtrTraitsEiEENS_6detail16IndexBoundsCheckILm4EiEESD_Lm4ESE_iEENS8_INS9_ISB_SC_Lm3ESE_iEESI_SC_Lm4ESE_iEESJ_T2_iiiiiiiiiiiiiii,comdat
	.globl	_ZN2at6native12_GLOBAL__N_132conv_depthwise2d_backward_kernelILi0ELi0EN3c104HalfEiEEvN5torch10headeronly6detail27GenericPackedTensorAccessorINS7_14TensorAccessorINS3_8ArrayRefIlEEKT1_Lm3ENS6_16DefaultPtrTraitsEiEENS_6detail16IndexBoundsCheckILm4EiEESD_Lm4ESE_iEENS8_INS9_ISB_SC_Lm3ESE_iEESI_SC_Lm4ESE_iEESJ_T2_iiiiiiiiiiiiiii ; -- Begin function _ZN2at6native12_GLOBAL__N_132conv_depthwise2d_backward_kernelILi0ELi0EN3c104HalfEiEEvN5torch10headeronly6detail27GenericPackedTensorAccessorINS7_14TensorAccessorINS3_8ArrayRefIlEEKT1_Lm3ENS6_16DefaultPtrTraitsEiEENS_6detail16IndexBoundsCheckILm4EiEESD_Lm4ESE_iEENS8_INS9_ISB_SC_Lm3ESE_iEESI_SC_Lm4ESE_iEESJ_T2_iiiiiiiiiiiiiii
	.p2align	8
	.type	_ZN2at6native12_GLOBAL__N_132conv_depthwise2d_backward_kernelILi0ELi0EN3c104HalfEiEEvN5torch10headeronly6detail27GenericPackedTensorAccessorINS7_14TensorAccessorINS3_8ArrayRefIlEEKT1_Lm3ENS6_16DefaultPtrTraitsEiEENS_6detail16IndexBoundsCheckILm4EiEESD_Lm4ESE_iEENS8_INS9_ISB_SC_Lm3ESE_iEESI_SC_Lm4ESE_iEESJ_T2_iiiiiiiiiiiiiii,@function
_ZN2at6native12_GLOBAL__N_132conv_depthwise2d_backward_kernelILi0ELi0EN3c104HalfEiEEvN5torch10headeronly6detail27GenericPackedTensorAccessorINS7_14TensorAccessorINS3_8ArrayRefIlEEKT1_Lm3ENS6_16DefaultPtrTraitsEiEENS_6detail16IndexBoundsCheckILm4EiEESD_Lm4ESE_iEENS8_INS9_ISB_SC_Lm3ESE_iEESI_SC_Lm4ESE_iEESJ_T2_iiiiiiiiiiiiiii: ; @_ZN2at6native12_GLOBAL__N_132conv_depthwise2d_backward_kernelILi0ELi0EN3c104HalfEiEEvN5torch10headeronly6detail27GenericPackedTensorAccessorINS7_14TensorAccessorINS3_8ArrayRefIlEEKT1_Lm3ENS6_16DefaultPtrTraitsEiEENS_6detail16IndexBoundsCheckILm4EiEESD_Lm4ESE_iEENS8_INS9_ISB_SC_Lm3ESE_iEESI_SC_Lm4ESE_iEESJ_T2_iiiiiiiiiiiiiii
; %bb.0:
	s_load_dword s2, s[4:5], 0xc4
	s_load_dwordx16 s[12:27], s[4:5], 0x78
	s_add_u32 s0, s4, 0xb8
	s_addc_u32 s1, s5, 0
	v_mov_b32_e32 v1, 0
	s_waitcnt lgkmcnt(0)
	s_and_b32 s2, s2, 0xffff
	v_mov_b32_e32 v2, s6
	v_mad_u64_u32 v[1:2], s[8:9], s2, v2, v[0:1]
	s_ashr_i32 s11, s12, 31
	s_mov_b32 s10, s12
	v_cmp_gt_i64_e32 vcc, s[10:11], v[1:2]
	s_and_saveexec_b64 s[8:9], vcc
	s_cbranch_execz .LBB51_20
; %bb.1:
	s_cmp_gt_i32 s14, 0
	s_load_dword s3, s[0:1], 0x0
	s_cselect_b64 s[0:1], -1, 0
	s_cmp_gt_i32 s21, 0
	s_cselect_b64 s[28:29], -1, 0
	s_cmp_gt_i32 s20, 0
	s_cselect_b64 s[30:31], -1, 0
	s_abs_i32 s12, s16
	v_cvt_f32_u32_e32 v3, s12
	s_abs_i32 s33, s17
	v_cvt_f32_u32_e32 v4, s33
	s_waitcnt lgkmcnt(0)
	s_mul_i32 s46, s3, s2
	v_rcp_iflag_f32_e32 v3, v3
	s_sub_i32 s3, 0, s12
	v_rcp_iflag_f32_e32 v4, v4
	s_abs_i32 s48, s13
	v_mul_f32_e32 v3, 0x4f7ffffe, v3
	v_cvt_u32_f32_e32 v3, v3
	v_mul_f32_e32 v4, 0x4f7ffffe, v4
	v_cvt_u32_f32_e32 v4, v4
	v_cvt_f32_u32_e32 v6, s48
	v_mul_lo_u32 v5, s3, v3
	s_sub_i32 s3, 0, s33
	v_mul_lo_u32 v7, s3, v4
	v_rcp_iflag_f32_e32 v8, v6
	v_mul_hi_u32 v5, v3, v5
	s_abs_i32 s50, s23
	s_abs_i32 s51, s22
	s_sub_i32 s3, 0, s48
	v_add_u32_e32 v6, v3, v5
	v_mul_hi_u32 v3, v4, v7
	v_mul_f32_e32 v5, 0x4f7ffffe, v8
	v_cvt_f32_u32_e32 v7, s50
	v_cvt_u32_f32_e32 v5, v5
	v_cvt_f32_u32_e32 v8, s51
	s_load_dwordx2 s[34:35], s[4:5], 0x0
	s_load_dwordx2 s[36:37], s[4:5], 0x28
	;; [unrolled: 1-line block ×3, first 2 shown]
	v_rcp_iflag_f32_e32 v10, v7
	v_mul_lo_u32 v9, s3, v5
	v_add_u32_e32 v7, v4, v3
	v_rcp_iflag_f32_e32 v3, v8
	v_mul_f32_e32 v8, 0x4f7ffffe, v10
	v_mul_hi_u32 v4, v5, v9
	v_cvt_u32_f32_e32 v9, v8
	v_mul_f32_e32 v3, 0x4f7ffffe, v3
	v_cvt_u32_f32_e32 v3, v3
	s_sub_i32 s3, 0, s50
	v_mul_lo_u32 v8, s3, v9
	s_sub_i32 s3, 0, s51
	v_mul_lo_u32 v10, s3, v3
	s_mul_i32 s2, s6, s2
	v_mul_hi_u32 v11, v9, v8
	v_add_u32_e32 v8, v5, v4
	v_mul_hi_u32 v4, v3, v10
	s_add_i32 s2, s2, s24
	s_mul_i32 s24, s21, s20
	s_ashr_i32 s47, s16, 31
	v_add_u32_e32 v10, v3, v4
	v_cndmask_b32_e64 v3, 0, 1, s[0:1]
	s_ashr_i32 s49, s17, 31
	s_ashr_i32 s52, s13, 31
	;; [unrolled: 1-line block ×3, first 2 shown]
	v_add_u32_e32 v9, v9, v11
	s_ashr_i32 s54, s22, 31
	v_add_u32_e32 v0, s2, v0
	s_mul_i32 s55, s24, s14
	s_max_i32 s56, s20, 0
	s_mov_b64 s[40:41], 0
	v_cmp_ne_u32_e64 s[0:1], 1, v3
	s_branch .LBB51_4
.LBB51_2:                               ;   in Loop: Header=BB51_4 Depth=1
	v_cvt_f16_f32_e32 v3, v16
.LBB51_3:                               ;   in Loop: Header=BB51_4 Depth=1
	v_lshlrev_b64 v[4:5], 1, v[1:2]
	s_waitcnt lgkmcnt(0)
	v_mov_b32_e32 v11, s37
	v_add_co_u32_e32 v4, vcc, s36, v4
	v_addc_co_u32_e32 v5, vcc, v11, v5, vcc
	v_add_co_u32_e32 v1, vcc, s46, v1
	v_addc_co_u32_e32 v2, vcc, 0, v2, vcc
	v_cmp_le_i64_e32 vcc, s[10:11], v[1:2]
	v_add_u32_e32 v0, s46, v0
	s_or_b64 s[40:41], vcc, s[40:41]
	global_store_short v[4:5], v3, off
	s_andn2_b64 exec, exec, s[40:41]
	s_cbranch_execz .LBB51_20
.LBB51_4:                               ; =>This Loop Header: Depth=1
                                        ;     Child Loop BB51_7 Depth 2
                                        ;       Child Loop BB51_10 Depth 3
                                        ;         Child Loop BB51_15 Depth 4
	s_and_b64 vcc, exec, s[0:1]
	s_cbranch_vccnz .LBB51_19
; %bb.5:                                ;   in Loop: Header=BB51_4 Depth=1
	v_sub_u32_e32 v3, 0, v1
	v_max_i32_e32 v3, v1, v3
	v_mul_hi_u32 v4, v3, v6
	v_ashrrev_i32_e32 v11, 31, v1
	v_xor_b32_e32 v11, s47, v11
	s_mov_b32 s57, 0
	v_mul_lo_u32 v5, v4, s12
	v_add_u32_e32 v12, 1, v4
	v_sub_u32_e32 v3, v3, v5
	v_cmp_le_u32_e32 vcc, s12, v3
	v_subrev_u32_e32 v5, s12, v3
	v_cndmask_b32_e32 v4, v4, v12, vcc
	v_cndmask_b32_e32 v3, v3, v5, vcc
	v_add_u32_e32 v5, 1, v4
	v_cmp_le_u32_e32 vcc, s12, v3
	v_cndmask_b32_e32 v3, v4, v5, vcc
	v_xor_b32_e32 v3, v3, v11
	v_sub_u32_e32 v3, v3, v11
	v_sub_u32_e32 v4, 0, v3
	v_max_i32_e32 v4, v3, v4
	v_mul_hi_u32 v5, v4, v7
	v_ashrrev_i32_e32 v12, 31, v3
	v_xor_b32_e32 v12, s49, v12
	v_mul_lo_u32 v16, s16, v3
	v_mul_lo_u32 v11, v5, s33
	v_add_u32_e32 v13, 1, v5
	v_add_u32_e32 v15, s25, v3
	v_sub_u32_e32 v17, v0, v16
	v_sub_u32_e32 v4, v4, v11
	v_cmp_le_u32_e32 vcc, s33, v4
	v_subrev_u32_e32 v11, s33, v4
	v_cndmask_b32_e32 v5, v5, v13, vcc
	v_cndmask_b32_e32 v4, v4, v11, vcc
	v_add_u32_e32 v11, 1, v5
	v_cmp_le_u32_e32 vcc, s33, v4
	v_cndmask_b32_e32 v4, v5, v11, vcc
	v_xor_b32_e32 v4, v4, v12
	v_sub_u32_e32 v4, v4, v12
	v_sub_u32_e32 v5, 0, v4
	v_max_i32_e32 v5, v4, v5
	v_mul_hi_u32 v11, v5, v8
	v_ashrrev_i32_e32 v13, 31, v4
	v_xor_b32_e32 v13, s52, v13
	v_mov_b32_e32 v16, 0
	v_mul_lo_u32 v12, v11, s48
	v_add_u32_e32 v14, 1, v11
	v_sub_u32_e32 v5, v5, v12
	v_cmp_le_u32_e32 vcc, s48, v5
	v_subrev_u32_e32 v12, s48, v5
	v_cndmask_b32_e32 v11, v11, v14, vcc
	v_cndmask_b32_e32 v5, v5, v12, vcc
	v_add_u32_e32 v12, 1, v11
	v_cmp_le_u32_e32 vcc, s48, v5
	v_cndmask_b32_e32 v5, v11, v12, vcc
	v_xor_b32_e32 v5, v5, v13
	v_sub_u32_e32 v5, v5, v13
	v_mul_lo_u32 v12, v5, s13
	v_mul_lo_u32 v11, s17, v4
	;; [unrolled: 1-line block ×3, first 2 shown]
	v_sub_u32_e32 v4, v4, v12
	v_mul_lo_u32 v12, v4, s14
	v_mul_lo_u32 v14, s55, v4
	s_branch .LBB51_7
.LBB51_6:                               ;   in Loop: Header=BB51_7 Depth=2
	s_add_i32 s57, s57, 1
	s_cmp_eq_u32 s57, s14
	v_add_u32_e32 v14, s24, v14
	s_cbranch_scc1 .LBB51_2
.LBB51_7:                               ;   Parent Loop BB51_4 Depth=1
                                        ; =>  This Loop Header: Depth=2
                                        ;       Child Loop BB51_10 Depth 3
                                        ;         Child Loop BB51_15 Depth 4
	s_andn2_b64 vcc, exec, s[28:29]
	s_cbranch_vccnz .LBB51_6
; %bb.8:                                ;   in Loop: Header=BB51_7 Depth=2
	v_add3_u32 v3, s57, v12, v13
	v_mul_lo_u32 v18, v3, s19
	s_mov_b32 s58, 0
	v_mov_b32_e32 v3, v14
	s_branch .LBB51_10
.LBB51_9:                               ;   in Loop: Header=BB51_10 Depth=3
	s_add_i32 s58, s58, 1
	s_cmp_eq_u32 s58, s21
	v_add_u32_e32 v3, s56, v3
	s_cbranch_scc1 .LBB51_6
.LBB51_10:                              ;   Parent Loop BB51_4 Depth=1
                                        ;     Parent Loop BB51_7 Depth=2
                                        ; =>    This Loop Header: Depth=3
                                        ;         Child Loop BB51_15 Depth 4
	s_andn2_b64 vcc, exec, s[30:31]
	s_cbranch_vccnz .LBB51_9
; %bb.11:                               ;   in Loop: Header=BB51_10 Depth=3
	s_mul_i32 s2, s27, s58
	v_add_u32_e32 v4, s2, v11
	v_sub_u32_e32 v19, v15, v4
	v_sub_u32_e32 v4, 0, v19
	v_max_i32_e32 v20, v19, v4
	v_mul_hi_u32 v21, v20, v9
	v_ashrrev_i32_e32 v24, 31, v19
	v_xor_b32_e32 v24, s53, v24
	v_ashrrev_i32_e32 v4, 31, v3
	v_mul_lo_u32 v23, v21, s50
	v_add_u32_e32 v25, 1, v21
	v_lshlrev_b64 v[4:5], 1, v[3:4]
	s_waitcnt lgkmcnt(0)
	v_mov_b32_e32 v22, s39
	v_sub_u32_e32 v20, v20, v23
	v_cmp_le_u32_e32 vcc, s50, v20
	v_subrev_u32_e32 v23, s50, v20
	v_cndmask_b32_e32 v21, v21, v25, vcc
	v_cndmask_b32_e32 v20, v20, v23, vcc
	v_add_u32_e32 v23, 1, v21
	v_cmp_le_u32_e32 vcc, s50, v20
	v_cndmask_b32_e32 v20, v21, v23, vcc
	v_xor_b32_e32 v20, v20, v24
	v_sub_u32_e32 v20, v20, v24
	v_mul_lo_u32 v21, v20, s23
	v_add_co_u32_e32 v4, vcc, s38, v4
	v_addc_co_u32_e32 v5, vcc, v22, v5, vcc
	v_sub_u32_e32 v19, v19, v21
	v_cmp_eq_u32_e32 vcc, 0, v19
	v_add_u32_e32 v19, v20, v18
	v_mul_lo_u32 v19, v19, s18
	v_cmp_lt_i32_e64 s[2:3], -1, v20
	v_cmp_gt_i32_e64 s[4:5], s19, v20
	s_mov_b32 s59, s20
	v_mov_b32_e32 v20, v17
	s_branch .LBB51_15
.LBB51_12:                              ;   in Loop: Header=BB51_15 Depth=4
	s_or_b64 exec, exec, s[8:9]
.LBB51_13:                              ;   in Loop: Header=BB51_15 Depth=4
	s_or_b64 exec, exec, s[44:45]
.LBB51_14:                              ;   in Loop: Header=BB51_15 Depth=4
	s_or_b64 exec, exec, s[42:43]
	s_add_i32 s59, s59, -1
	v_add_co_u32_e64 v4, s[6:7], 2, v4
	v_subrev_u32_e32 v20, s26, v20
	s_cmp_eq_u32 s59, 0
	v_addc_co_u32_e64 v5, s[6:7], 0, v5, s[6:7]
	s_cbranch_scc1 .LBB51_9
.LBB51_15:                              ;   Parent Loop BB51_4 Depth=1
                                        ;     Parent Loop BB51_7 Depth=2
                                        ;       Parent Loop BB51_10 Depth=3
                                        ; =>      This Inner Loop Header: Depth=4
	s_and_saveexec_b64 s[42:43], vcc
	s_cbranch_execz .LBB51_14
; %bb.16:                               ;   in Loop: Header=BB51_15 Depth=4
	v_sub_u32_e32 v21, 0, v20
	v_max_i32_e32 v21, v20, v21
	v_mul_hi_u32 v22, v21, v10
	v_ashrrev_i32_e32 v24, 31, v20
	v_xor_b32_e32 v24, s54, v24
	v_mul_lo_u32 v23, v22, s51
	v_add_u32_e32 v25, 1, v22
	v_sub_u32_e32 v21, v21, v23
	v_cmp_le_u32_e64 s[6:7], s51, v21
	v_subrev_u32_e32 v23, s51, v21
	v_cndmask_b32_e64 v22, v22, v25, s[6:7]
	v_cndmask_b32_e64 v21, v21, v23, s[6:7]
	v_add_u32_e32 v23, 1, v22
	v_cmp_le_u32_e64 s[6:7], s51, v21
	v_cndmask_b32_e64 v21, v22, v23, s[6:7]
	v_xor_b32_e32 v21, v21, v24
	v_sub_u32_e32 v21, v21, v24
	v_mul_lo_u32 v22, v21, s22
	v_sub_u32_e32 v22, v20, v22
	v_cmp_eq_u32_e64 s[6:7], 0, v22
	s_and_b64 s[6:7], s[6:7], s[2:3]
	s_and_saveexec_b64 s[44:45], s[6:7]
	s_cbranch_execz .LBB51_13
; %bb.17:                               ;   in Loop: Header=BB51_15 Depth=4
	v_cmp_lt_i32_e64 s[6:7], -1, v21
	v_cmp_gt_i32_e64 s[8:9], s18, v21
	s_and_b64 s[6:7], s[6:7], s[8:9]
	s_and_b64 s[6:7], s[4:5], s[6:7]
	s_and_saveexec_b64 s[8:9], s[6:7]
	s_cbranch_execz .LBB51_12
; %bb.18:                               ;   in Loop: Header=BB51_15 Depth=4
	v_add_u32_e32 v21, v19, v21
	v_ashrrev_i32_e32 v22, 31, v21
	v_lshlrev_b64 v[21:22], 1, v[21:22]
	v_mov_b32_e32 v24, s35
	v_add_co_u32_e64 v21, s[6:7], s34, v21
	v_addc_co_u32_e64 v22, s[6:7], v24, v22, s[6:7]
	global_load_ushort v23, v[4:5], off
	s_nop 0
	global_load_ushort v21, v[21:22], off
	s_waitcnt vmcnt(0)
	v_fma_mix_f32 v16, v23, v21, v16 op_sel_hi:[1,1,0]
	s_branch .LBB51_12
.LBB51_19:                              ;   in Loop: Header=BB51_4 Depth=1
	v_mov_b32_e32 v3, 0
	s_branch .LBB51_3
.LBB51_20:
	s_endpgm
	.section	.rodata,"a",@progbits
	.p2align	6, 0x0
	.amdhsa_kernel _ZN2at6native12_GLOBAL__N_132conv_depthwise2d_backward_kernelILi0ELi0EN3c104HalfEiEEvN5torch10headeronly6detail27GenericPackedTensorAccessorINS7_14TensorAccessorINS3_8ArrayRefIlEEKT1_Lm3ENS6_16DefaultPtrTraitsEiEENS_6detail16IndexBoundsCheckILm4EiEESD_Lm4ESE_iEENS8_INS9_ISB_SC_Lm3ESE_iEESI_SC_Lm4ESE_iEESJ_T2_iiiiiiiiiiiiiii
		.amdhsa_group_segment_fixed_size 0
		.amdhsa_private_segment_fixed_size 0
		.amdhsa_kernarg_size 440
		.amdhsa_user_sgpr_count 6
		.amdhsa_user_sgpr_private_segment_buffer 1
		.amdhsa_user_sgpr_dispatch_ptr 0
		.amdhsa_user_sgpr_queue_ptr 0
		.amdhsa_user_sgpr_kernarg_segment_ptr 1
		.amdhsa_user_sgpr_dispatch_id 0
		.amdhsa_user_sgpr_flat_scratch_init 0
		.amdhsa_user_sgpr_private_segment_size 0
		.amdhsa_uses_dynamic_stack 0
		.amdhsa_system_sgpr_private_segment_wavefront_offset 0
		.amdhsa_system_sgpr_workgroup_id_x 1
		.amdhsa_system_sgpr_workgroup_id_y 0
		.amdhsa_system_sgpr_workgroup_id_z 0
		.amdhsa_system_sgpr_workgroup_info 0
		.amdhsa_system_vgpr_workitem_id 0
		.amdhsa_next_free_vgpr 26
		.amdhsa_next_free_sgpr 60
		.amdhsa_reserve_vcc 1
		.amdhsa_reserve_flat_scratch 0
		.amdhsa_float_round_mode_32 0
		.amdhsa_float_round_mode_16_64 0
		.amdhsa_float_denorm_mode_32 3
		.amdhsa_float_denorm_mode_16_64 3
		.amdhsa_dx10_clamp 1
		.amdhsa_ieee_mode 1
		.amdhsa_fp16_overflow 0
		.amdhsa_exception_fp_ieee_invalid_op 0
		.amdhsa_exception_fp_denorm_src 0
		.amdhsa_exception_fp_ieee_div_zero 0
		.amdhsa_exception_fp_ieee_overflow 0
		.amdhsa_exception_fp_ieee_underflow 0
		.amdhsa_exception_fp_ieee_inexact 0
		.amdhsa_exception_int_div_zero 0
	.end_amdhsa_kernel
	.section	.text._ZN2at6native12_GLOBAL__N_132conv_depthwise2d_backward_kernelILi0ELi0EN3c104HalfEiEEvN5torch10headeronly6detail27GenericPackedTensorAccessorINS7_14TensorAccessorINS3_8ArrayRefIlEEKT1_Lm3ENS6_16DefaultPtrTraitsEiEENS_6detail16IndexBoundsCheckILm4EiEESD_Lm4ESE_iEENS8_INS9_ISB_SC_Lm3ESE_iEESI_SC_Lm4ESE_iEESJ_T2_iiiiiiiiiiiiiii,"axG",@progbits,_ZN2at6native12_GLOBAL__N_132conv_depthwise2d_backward_kernelILi0ELi0EN3c104HalfEiEEvN5torch10headeronly6detail27GenericPackedTensorAccessorINS7_14TensorAccessorINS3_8ArrayRefIlEEKT1_Lm3ENS6_16DefaultPtrTraitsEiEENS_6detail16IndexBoundsCheckILm4EiEESD_Lm4ESE_iEENS8_INS9_ISB_SC_Lm3ESE_iEESI_SC_Lm4ESE_iEESJ_T2_iiiiiiiiiiiiiii,comdat
.Lfunc_end51:
	.size	_ZN2at6native12_GLOBAL__N_132conv_depthwise2d_backward_kernelILi0ELi0EN3c104HalfEiEEvN5torch10headeronly6detail27GenericPackedTensorAccessorINS7_14TensorAccessorINS3_8ArrayRefIlEEKT1_Lm3ENS6_16DefaultPtrTraitsEiEENS_6detail16IndexBoundsCheckILm4EiEESD_Lm4ESE_iEENS8_INS9_ISB_SC_Lm3ESE_iEESI_SC_Lm4ESE_iEESJ_T2_iiiiiiiiiiiiiii, .Lfunc_end51-_ZN2at6native12_GLOBAL__N_132conv_depthwise2d_backward_kernelILi0ELi0EN3c104HalfEiEEvN5torch10headeronly6detail27GenericPackedTensorAccessorINS7_14TensorAccessorINS3_8ArrayRefIlEEKT1_Lm3ENS6_16DefaultPtrTraitsEiEENS_6detail16IndexBoundsCheckILm4EiEESD_Lm4ESE_iEENS8_INS9_ISB_SC_Lm3ESE_iEESI_SC_Lm4ESE_iEESJ_T2_iiiiiiiiiiiiiii
                                        ; -- End function
	.set _ZN2at6native12_GLOBAL__N_132conv_depthwise2d_backward_kernelILi0ELi0EN3c104HalfEiEEvN5torch10headeronly6detail27GenericPackedTensorAccessorINS7_14TensorAccessorINS3_8ArrayRefIlEEKT1_Lm3ENS6_16DefaultPtrTraitsEiEENS_6detail16IndexBoundsCheckILm4EiEESD_Lm4ESE_iEENS8_INS9_ISB_SC_Lm3ESE_iEESI_SC_Lm4ESE_iEESJ_T2_iiiiiiiiiiiiiii.num_vgpr, 26
	.set _ZN2at6native12_GLOBAL__N_132conv_depthwise2d_backward_kernelILi0ELi0EN3c104HalfEiEEvN5torch10headeronly6detail27GenericPackedTensorAccessorINS7_14TensorAccessorINS3_8ArrayRefIlEEKT1_Lm3ENS6_16DefaultPtrTraitsEiEENS_6detail16IndexBoundsCheckILm4EiEESD_Lm4ESE_iEENS8_INS9_ISB_SC_Lm3ESE_iEESI_SC_Lm4ESE_iEESJ_T2_iiiiiiiiiiiiiii.num_agpr, 0
	.set _ZN2at6native12_GLOBAL__N_132conv_depthwise2d_backward_kernelILi0ELi0EN3c104HalfEiEEvN5torch10headeronly6detail27GenericPackedTensorAccessorINS7_14TensorAccessorINS3_8ArrayRefIlEEKT1_Lm3ENS6_16DefaultPtrTraitsEiEENS_6detail16IndexBoundsCheckILm4EiEESD_Lm4ESE_iEENS8_INS9_ISB_SC_Lm3ESE_iEESI_SC_Lm4ESE_iEESJ_T2_iiiiiiiiiiiiiii.numbered_sgpr, 60
	.set _ZN2at6native12_GLOBAL__N_132conv_depthwise2d_backward_kernelILi0ELi0EN3c104HalfEiEEvN5torch10headeronly6detail27GenericPackedTensorAccessorINS7_14TensorAccessorINS3_8ArrayRefIlEEKT1_Lm3ENS6_16DefaultPtrTraitsEiEENS_6detail16IndexBoundsCheckILm4EiEESD_Lm4ESE_iEENS8_INS9_ISB_SC_Lm3ESE_iEESI_SC_Lm4ESE_iEESJ_T2_iiiiiiiiiiiiiii.num_named_barrier, 0
	.set _ZN2at6native12_GLOBAL__N_132conv_depthwise2d_backward_kernelILi0ELi0EN3c104HalfEiEEvN5torch10headeronly6detail27GenericPackedTensorAccessorINS7_14TensorAccessorINS3_8ArrayRefIlEEKT1_Lm3ENS6_16DefaultPtrTraitsEiEENS_6detail16IndexBoundsCheckILm4EiEESD_Lm4ESE_iEENS8_INS9_ISB_SC_Lm3ESE_iEESI_SC_Lm4ESE_iEESJ_T2_iiiiiiiiiiiiiii.private_seg_size, 0
	.set _ZN2at6native12_GLOBAL__N_132conv_depthwise2d_backward_kernelILi0ELi0EN3c104HalfEiEEvN5torch10headeronly6detail27GenericPackedTensorAccessorINS7_14TensorAccessorINS3_8ArrayRefIlEEKT1_Lm3ENS6_16DefaultPtrTraitsEiEENS_6detail16IndexBoundsCheckILm4EiEESD_Lm4ESE_iEENS8_INS9_ISB_SC_Lm3ESE_iEESI_SC_Lm4ESE_iEESJ_T2_iiiiiiiiiiiiiii.uses_vcc, 1
	.set _ZN2at6native12_GLOBAL__N_132conv_depthwise2d_backward_kernelILi0ELi0EN3c104HalfEiEEvN5torch10headeronly6detail27GenericPackedTensorAccessorINS7_14TensorAccessorINS3_8ArrayRefIlEEKT1_Lm3ENS6_16DefaultPtrTraitsEiEENS_6detail16IndexBoundsCheckILm4EiEESD_Lm4ESE_iEENS8_INS9_ISB_SC_Lm3ESE_iEESI_SC_Lm4ESE_iEESJ_T2_iiiiiiiiiiiiiii.uses_flat_scratch, 0
	.set _ZN2at6native12_GLOBAL__N_132conv_depthwise2d_backward_kernelILi0ELi0EN3c104HalfEiEEvN5torch10headeronly6detail27GenericPackedTensorAccessorINS7_14TensorAccessorINS3_8ArrayRefIlEEKT1_Lm3ENS6_16DefaultPtrTraitsEiEENS_6detail16IndexBoundsCheckILm4EiEESD_Lm4ESE_iEENS8_INS9_ISB_SC_Lm3ESE_iEESI_SC_Lm4ESE_iEESJ_T2_iiiiiiiiiiiiiii.has_dyn_sized_stack, 0
	.set _ZN2at6native12_GLOBAL__N_132conv_depthwise2d_backward_kernelILi0ELi0EN3c104HalfEiEEvN5torch10headeronly6detail27GenericPackedTensorAccessorINS7_14TensorAccessorINS3_8ArrayRefIlEEKT1_Lm3ENS6_16DefaultPtrTraitsEiEENS_6detail16IndexBoundsCheckILm4EiEESD_Lm4ESE_iEENS8_INS9_ISB_SC_Lm3ESE_iEESI_SC_Lm4ESE_iEESJ_T2_iiiiiiiiiiiiiii.has_recursion, 0
	.set _ZN2at6native12_GLOBAL__N_132conv_depthwise2d_backward_kernelILi0ELi0EN3c104HalfEiEEvN5torch10headeronly6detail27GenericPackedTensorAccessorINS7_14TensorAccessorINS3_8ArrayRefIlEEKT1_Lm3ENS6_16DefaultPtrTraitsEiEENS_6detail16IndexBoundsCheckILm4EiEESD_Lm4ESE_iEENS8_INS9_ISB_SC_Lm3ESE_iEESI_SC_Lm4ESE_iEESJ_T2_iiiiiiiiiiiiiii.has_indirect_call, 0
	.section	.AMDGPU.csdata,"",@progbits
; Kernel info:
; codeLenInByte = 1364
; TotalNumSgprs: 64
; NumVgprs: 26
; ScratchSize: 0
; MemoryBound: 0
; FloatMode: 240
; IeeeMode: 1
; LDSByteSize: 0 bytes/workgroup (compile time only)
; SGPRBlocks: 7
; VGPRBlocks: 6
; NumSGPRsForWavesPerEU: 64
; NumVGPRsForWavesPerEU: 26
; Occupancy: 9
; WaveLimiterHint : 0
; COMPUTE_PGM_RSRC2:SCRATCH_EN: 0
; COMPUTE_PGM_RSRC2:USER_SGPR: 6
; COMPUTE_PGM_RSRC2:TRAP_HANDLER: 0
; COMPUTE_PGM_RSRC2:TGID_X_EN: 1
; COMPUTE_PGM_RSRC2:TGID_Y_EN: 0
; COMPUTE_PGM_RSRC2:TGID_Z_EN: 0
; COMPUTE_PGM_RSRC2:TIDIG_COMP_CNT: 0
	.section	.text._ZN2at6native12_GLOBAL__N_132conv_depthwise2d_backward_kernelILi5ELi1EN3c108BFloat16EiEEvN5torch10headeronly6detail27GenericPackedTensorAccessorINS7_14TensorAccessorINS3_8ArrayRefIlEEKT1_Lm3ENS6_16DefaultPtrTraitsEiEENS_6detail16IndexBoundsCheckILm4EiEESD_Lm4ESE_iEENS8_INS9_ISB_SC_Lm3ESE_iEESI_SC_Lm4ESE_iEESJ_T2_iiiiiiiiiiiiiii,"axG",@progbits,_ZN2at6native12_GLOBAL__N_132conv_depthwise2d_backward_kernelILi5ELi1EN3c108BFloat16EiEEvN5torch10headeronly6detail27GenericPackedTensorAccessorINS7_14TensorAccessorINS3_8ArrayRefIlEEKT1_Lm3ENS6_16DefaultPtrTraitsEiEENS_6detail16IndexBoundsCheckILm4EiEESD_Lm4ESE_iEENS8_INS9_ISB_SC_Lm3ESE_iEESI_SC_Lm4ESE_iEESJ_T2_iiiiiiiiiiiiiii,comdat
	.globl	_ZN2at6native12_GLOBAL__N_132conv_depthwise2d_backward_kernelILi5ELi1EN3c108BFloat16EiEEvN5torch10headeronly6detail27GenericPackedTensorAccessorINS7_14TensorAccessorINS3_8ArrayRefIlEEKT1_Lm3ENS6_16DefaultPtrTraitsEiEENS_6detail16IndexBoundsCheckILm4EiEESD_Lm4ESE_iEENS8_INS9_ISB_SC_Lm3ESE_iEESI_SC_Lm4ESE_iEESJ_T2_iiiiiiiiiiiiiii ; -- Begin function _ZN2at6native12_GLOBAL__N_132conv_depthwise2d_backward_kernelILi5ELi1EN3c108BFloat16EiEEvN5torch10headeronly6detail27GenericPackedTensorAccessorINS7_14TensorAccessorINS3_8ArrayRefIlEEKT1_Lm3ENS6_16DefaultPtrTraitsEiEENS_6detail16IndexBoundsCheckILm4EiEESD_Lm4ESE_iEENS8_INS9_ISB_SC_Lm3ESE_iEESI_SC_Lm4ESE_iEESJ_T2_iiiiiiiiiiiiiii
	.p2align	8
	.type	_ZN2at6native12_GLOBAL__N_132conv_depthwise2d_backward_kernelILi5ELi1EN3c108BFloat16EiEEvN5torch10headeronly6detail27GenericPackedTensorAccessorINS7_14TensorAccessorINS3_8ArrayRefIlEEKT1_Lm3ENS6_16DefaultPtrTraitsEiEENS_6detail16IndexBoundsCheckILm4EiEESD_Lm4ESE_iEENS8_INS9_ISB_SC_Lm3ESE_iEESI_SC_Lm4ESE_iEESJ_T2_iiiiiiiiiiiiiii,@function
_ZN2at6native12_GLOBAL__N_132conv_depthwise2d_backward_kernelILi5ELi1EN3c108BFloat16EiEEvN5torch10headeronly6detail27GenericPackedTensorAccessorINS7_14TensorAccessorINS3_8ArrayRefIlEEKT1_Lm3ENS6_16DefaultPtrTraitsEiEENS_6detail16IndexBoundsCheckILm4EiEESD_Lm4ESE_iEENS8_INS9_ISB_SC_Lm3ESE_iEESI_SC_Lm4ESE_iEESJ_T2_iiiiiiiiiiiiiii: ; @_ZN2at6native12_GLOBAL__N_132conv_depthwise2d_backward_kernelILi5ELi1EN3c108BFloat16EiEEvN5torch10headeronly6detail27GenericPackedTensorAccessorINS7_14TensorAccessorINS3_8ArrayRefIlEEKT1_Lm3ENS6_16DefaultPtrTraitsEiEENS_6detail16IndexBoundsCheckILm4EiEESD_Lm4ESE_iEENS8_INS9_ISB_SC_Lm3ESE_iEESI_SC_Lm4ESE_iEESJ_T2_iiiiiiiiiiiiiii
; %bb.0:
	s_load_dword s2, s[4:5], 0xc4
	s_load_dwordx8 s[20:27], s[4:5], 0x78
	s_add_u32 s0, s4, 0xb8
	s_addc_u32 s1, s5, 0
	v_mov_b32_e32 v1, 0
	s_waitcnt lgkmcnt(0)
	s_and_b32 s2, s2, 0xffff
	v_mov_b32_e32 v2, s6
	v_mad_u64_u32 v[1:2], s[8:9], s2, v2, v[0:1]
	s_ashr_i32 s19, s20, 31
	s_mov_b32 s18, s20
	v_cmp_gt_i64_e32 vcc, s[18:19], v[1:2]
	s_and_saveexec_b64 s[8:9], vcc
	s_cbranch_execz .LBB52_57
; %bb.1:
	s_cmp_gt_i32 s22, 0
	s_cselect_b64 s[8:9], -1, 0
	s_abs_i32 s20, s24
	v_cvt_f32_u32_e32 v3, s20
	s_abs_i32 s33, s25
	v_cvt_f32_u32_e32 v4, s33
	s_abs_i32 s78, s21
	v_cvt_f32_u32_e32 v5, s78
	v_rcp_iflag_f32_e32 v3, v3
	v_rcp_iflag_f32_e32 v4, v4
	s_load_dwordx2 s[10:11], s[4:5], 0x98
	s_load_dwordx2 s[34:35], s[4:5], 0x0
	;; [unrolled: 1-line block ×4, first 2 shown]
	s_load_dword s3, s[0:1], 0x0
	v_rcp_iflag_f32_e32 v5, v5
	v_mul_f32_e32 v3, 0x4f7ffffe, v3
	v_cvt_u32_f32_e32 v3, v3
	v_mul_f32_e32 v4, 0x4f7ffffe, v4
	v_cvt_u32_f32_e32 v4, v4
	v_mul_f32_e32 v5, 0x4f7ffffe, v5
	s_sub_i32 s0, 0, s20
	v_cvt_u32_f32_e32 v7, v5
	v_mul_lo_u32 v6, s0, v3
	s_load_dwordx4 s[28:31], s[4:5], 0xa8
	s_sub_i32 s0, 0, s33
	v_mul_lo_u32 v5, s0, v4
	s_sub_i32 s0, 0, s78
	v_mul_lo_u32 v8, s0, v7
	s_ashr_i32 s0, s24, 31
                                        ; implicit-def: $vgpr45 : SGPR spill to VGPR lane
	v_mul_hi_u32 v6, v3, v6
	v_writelane_b32 v45, s0, 0
	s_ashr_i32 s0, s25, 31
	v_writelane_b32 v45, s0, 1
	s_mul_i32 s0, s6, s2
	v_mul_hi_u32 v9, v4, v5
	s_waitcnt lgkmcnt(0)
	s_add_i32 s0, s0, s28
	v_add_u32_e32 v0, s0, v0
	s_lshl_b32 s0, s30, 2
	v_add_u32_e32 v5, v3, v6
	v_mul_hi_u32 v3, v7, v8
	v_subrev_u32_e32 v8, s0, v0
	s_lshl_b32 s0, s31, 2
	s_sub_i32 s86, s29, s0
	s_mul_i32 s0, s30, 3
	v_add_u32_e32 v6, v4, v9
	v_subrev_u32_e32 v9, s0, v0
	s_lshl_b32 s0, s30, 1
	v_subrev_u32_e32 v10, s0, v0
	s_mul_i32 s0, s31, 3
	v_add_u32_e32 v7, v7, v3
	s_sub_i32 s88, s29, s0
	s_lshl_b32 s0, s31, 1
	v_cndmask_b32_e64 v3, 0, 1, s[8:9]
	s_mul_i32 s79, s3, s2
	s_ashr_i32 s82, s21, 31
	s_mul_i32 s83, s11, s10
	s_sub_i32 s91, 0, s24
	s_mul_i32 s87, s27, s26
	v_subrev_u32_e32 v11, s30, v0
	s_sub_i32 s89, s29, s0
	s_sub_i32 s90, s29, s31
	s_mov_b64 s[40:41], 0
	v_cmp_ne_u32_e64 s[0:1], 1, v3
	v_mov_b32_e32 v12, 0x7fc0
	s_branch .LBB52_4
.LBB52_2:                               ;   in Loop: Header=BB52_4 Depth=1
	v_mov_b32_e32 v38, 0
.LBB52_3:                               ;   in Loop: Header=BB52_4 Depth=1
	v_bfe_u32 v3, v38, 16, 1
	s_movk_i32 s2, 0x7fff
	v_add3_u32 v3, v38, v3, s2
	v_cmp_o_f32_e32 vcc, v38, v38
	v_cndmask_b32_sdwa v13, v12, v3, vcc dst_sel:DWORD dst_unused:UNUSED_PAD src0_sel:DWORD src1_sel:WORD_1
	v_lshlrev_b64 v[3:4], 1, v[1:2]
	v_mov_b32_e32 v14, s37
	v_add_co_u32_e32 v3, vcc, s36, v3
	v_addc_co_u32_e32 v4, vcc, v14, v4, vcc
	v_add_co_u32_e32 v1, vcc, s79, v1
	v_addc_co_u32_e32 v2, vcc, 0, v2, vcc
	v_cmp_le_i64_e32 vcc, s[18:19], v[1:2]
	v_add_u32_e32 v8, s79, v8
	v_add_u32_e32 v9, s79, v9
	;; [unrolled: 1-line block ×4, first 2 shown]
	s_or_b64 s[40:41], vcc, s[40:41]
	v_add_u32_e32 v0, s79, v0
	global_store_short v[3:4], v13, off
	s_andn2_b64 exec, exec, s[40:41]
	s_cbranch_execz .LBB52_57
.LBB52_4:                               ; =>This Loop Header: Depth=1
                                        ;     Child Loop BB52_7 Depth 2
	s_and_b64 vcc, exec, s[0:1]
	s_cbranch_vccnz .LBB52_2
; %bb.5:                                ;   in Loop: Header=BB52_4 Depth=1
	v_sub_u32_e32 v3, 0, v1
	v_max_i32_e32 v4, v1, v3
	v_mul_hi_u32 v13, v4, v5
	v_ashrrev_i32_e32 v3, 31, v1
	v_readlane_b32 s2, v45, 0
	v_xor_b32_e32 v3, s2, v3
	v_mul_lo_u32 v14, v13, s20
	v_add_u32_e32 v15, 1, v13
	v_readlane_b32 s2, v45, 1
	v_sub_u32_e32 v4, v4, v14
	v_cmp_le_u32_e32 vcc, s20, v4
	v_subrev_u32_e32 v14, s20, v4
	v_cndmask_b32_e32 v13, v13, v15, vcc
	v_cndmask_b32_e32 v4, v4, v14, vcc
	v_add_u32_e32 v14, 1, v13
	v_cmp_le_u32_e32 vcc, s20, v4
	v_cndmask_b32_e32 v4, v13, v14, vcc
	v_xor_b32_e32 v26, v4, v3
	v_sub_u32_e32 v4, v26, v3
	v_sub_u32_e32 v13, 0, v4
	v_max_i32_e32 v13, v4, v13
	v_mul_hi_u32 v14, v13, v6
	v_ashrrev_i32_e32 v16, 31, v4
	v_xor_b32_e32 v16, s2, v16
	v_mul_lo_u32 v30, s91, v4
	v_mul_lo_u32 v15, v14, s33
	v_add_u32_e32 v17, 1, v14
	v_sub_u32_e32 v13, v13, v15
	v_cmp_le_u32_e32 vcc, s33, v13
	v_subrev_u32_e32 v15, s33, v13
	v_cndmask_b32_e32 v14, v14, v17, vcc
	v_cndmask_b32_e32 v13, v13, v15, vcc
	v_add_u32_e32 v15, 1, v14
	v_cmp_le_u32_e32 vcc, s33, v13
	v_cndmask_b32_e32 v13, v14, v15, vcc
	v_xor_b32_e32 v13, v13, v16
	v_sub_u32_e32 v13, v13, v16
	v_sub_u32_e32 v14, 0, v13
	v_max_i32_e32 v14, v13, v14
	v_mul_hi_u32 v15, v14, v7
	v_mul_lo_u32 v27, v13, s25
	v_mul_lo_u32 v16, v15, s78
	v_add_u32_e32 v17, 1, v15
	v_sub_u32_e32 v14, v14, v16
	v_cmp_le_u32_e32 vcc, s78, v14
	v_subrev_u32_e32 v16, s78, v14
	v_cndmask_b32_e32 v15, v15, v17, vcc
	v_cndmask_b32_e32 v14, v14, v16, vcc
	v_add_u32_e32 v16, 1, v15
	v_cmp_le_u32_e32 vcc, s78, v14
	v_cndmask_b32_e32 v14, v15, v16, vcc
	v_mul_lo_u32 v15, v4, s24
	v_add_u32_e32 v17, s28, v1
	v_add_u32_e32 v16, s29, v4
	v_sub_u32_e32 v18, v17, v15
	v_add_u32_e32 v15, s30, v15
	v_cmp_lt_i32_e32 vcc, -1, v18
	v_cmp_gt_i32_e64 s[2:3], s26, v18
	v_sub_u32_e32 v18, v17, v15
	v_add_u32_e32 v15, s30, v15
	v_cmp_lt_i32_e64 s[4:5], -1, v18
	v_cmp_gt_i32_e64 s[6:7], s26, v18
	v_sub_u32_e32 v18, v17, v15
	v_add_u32_e32 v15, s30, v15
	v_cmp_lt_i32_e64 s[8:9], -1, v18
	v_cmp_gt_i32_e64 s[10:11], s26, v18
	v_sub_u32_e32 v18, v17, v15
	v_add_u32_e32 v15, s30, v15
	v_sub_u32_e32 v15, v17, v15
	s_and_b64 s[42:43], vcc, s[2:3]
	v_cmp_lt_i32_e32 vcc, -1, v15
	v_cmp_gt_i32_e64 s[2:3], s26, v15
	v_add_u32_e32 v15, s31, v27
	v_sub_u32_e32 v17, v16, v15
	v_add_u32_e32 v15, s31, v15
	v_sub_u32_e32 v19, v16, v15
	;; [unrolled: 2-line block ×3, first 2 shown]
	v_add_u32_e32 v15, s31, v15
	v_cmp_lt_i32_e64 s[12:13], -1, v18
	v_cmp_gt_i32_e64 s[14:15], s26, v18
	v_sub_u32_e32 v18, v16, v27
	v_sub_u32_e32 v15, v16, v15
	v_ashrrev_i32_e32 v16, 31, v13
	v_xor_b32_e32 v16, s82, v16
	v_xor_b32_e32 v14, v14, v16
	v_sub_u32_e32 v14, v14, v16
	v_mul_lo_u32 v16, v14, s21
	s_and_b64 s[4:5], s[4:5], s[6:7]
	s_and_b64 s[8:9], s[8:9], s[10:11]
	;; [unrolled: 1-line block ×3, first 2 shown]
	s_and_b64 s[2:3], vcc, s[2:3]
	v_cmp_gt_i32_e32 vcc, s27, v17
	v_mul_lo_u32 v14, v14, s23
	s_and_b64 s[46:47], vcc, s[42:43]
	s_and_b64 s[48:49], vcc, s[4:5]
	;; [unrolled: 1-line block ×5, first 2 shown]
	v_cmp_gt_i32_e32 vcc, s27, v19
	v_cmp_gt_i32_e64 s[16:17], s27, v18
	s_and_b64 s[56:57], vcc, s[42:43]
	s_and_b64 s[58:59], vcc, s[4:5]
	;; [unrolled: 1-line block ×5, first 2 shown]
	v_cmp_gt_i32_e32 vcc, s27, v20
	s_and_b64 s[14:15], s[16:17], s[12:13]
	s_and_b64 s[66:67], vcc, s[42:43]
	s_and_b64 s[68:69], vcc, s[4:5]
	;; [unrolled: 1-line block ×5, first 2 shown]
	v_cmp_gt_i32_e32 vcc, s27, v15
	v_sub_u32_e32 v38, v13, v16
	s_and_b64 s[10:11], s[16:17], s[8:9]
	s_and_b64 s[94:95], vcc, s[8:9]
	s_xor_b64 s[8:9], s[14:15], -1
	s_xor_b64 s[14:15], s[48:49], -1
	;; [unrolled: 1-line block ×4, first 2 shown]
	v_mad_u64_u32 v[13:14], s[68:69], v38, s22, v[14:15]
	s_and_b64 s[76:77], vcc, s[42:43]
	s_and_b64 s[92:93], vcc, s[4:5]
	v_mul_lo_u32 v28, s27, v13
	s_and_b64 s[80:81], vcc, s[12:13]
	s_and_b64 s[84:85], vcc, s[2:3]
	v_cmp_gt_i32_e32 vcc, 0, v18
	v_add3_u32 v13, s86, v26, v28
	v_add3_u32 v14, s88, v26, v28
	v_add3_u32 v18, s89, v26, v28
	v_add3_u32 v22, s90, v26, v28
	v_add3_u32 v26, s29, v26, v28
	s_and_b64 s[44:45], s[16:17], s[42:43]
	s_and_b64 s[6:7], s[16:17], s[4:5]
	;; [unrolled: 1-line block ×3, first 2 shown]
	v_sub_u32_e32 v13, v13, v27
	v_sub_u32_e32 v14, v14, v27
	;; [unrolled: 1-line block ×5, first 2 shown]
	s_xor_b64 s[2:3], s[44:45], -1
	s_xor_b64 s[4:5], s[6:7], -1
	;; [unrolled: 1-line block ×4, first 2 shown]
	v_sub_u32_e32 v13, v13, v3
	v_sub_u32_e32 v14, v14, v3
	v_sub_u32_e32 v18, v18, v3
	v_sub_u32_e32 v22, v22, v3
	v_sub_u32_e32 v3, v26, v3
	s_nor_b64 s[2:3], vcc, s[2:3]
	s_nor_b64 s[4:5], vcc, s[4:5]
	;; [unrolled: 1-line block ×5, first 2 shown]
	s_xor_b64 s[12:13], s[46:47], -1
	v_cmp_gt_i32_e32 vcc, 0, v17
	s_xor_b64 s[16:17], s[50:51], -1
	s_xor_b64 s[42:43], s[52:53], -1
	;; [unrolled: 1-line block ×6, first 2 shown]
	v_mul_lo_u32 v31, s26, v13
	v_mul_lo_u32 v32, s26, v14
	;; [unrolled: 1-line block ×5, first 2 shown]
	s_mul_i32 s76, s83, s22
	s_nor_b64 s[12:13], vcc, s[12:13]
	s_nor_b64 s[14:15], vcc, s[14:15]
	;; [unrolled: 1-line block ×5, first 2 shown]
	v_cmp_gt_i32_e32 vcc, 0, v19
	s_xor_b64 s[50:51], s[60:61], -1
	s_xor_b64 s[52:53], s[62:63], -1
	;; [unrolled: 1-line block ×3, first 2 shown]
	v_mul_lo_u32 v3, s76, v38
	s_nor_b64 s[46:47], vcc, s[46:47]
	s_nor_b64 s[48:49], vcc, s[48:49]
	;; [unrolled: 1-line block ×5, first 2 shown]
	v_cmp_gt_i32_e32 vcc, 0, v20
	s_xor_b64 s[60:61], s[70:71], -1
	s_xor_b64 s[62:63], s[72:73], -1
	;; [unrolled: 1-line block ×3, first 2 shown]
	s_nor_b64 s[56:57], vcc, s[56:57]
	s_nor_b64 s[58:59], vcc, s[58:59]
	;; [unrolled: 1-line block ×5, first 2 shown]
	v_cmp_gt_i32_e32 vcc, 0, v15
	s_xor_b64 s[68:69], s[92:93], -1
	s_xor_b64 s[70:71], s[94:95], -1
	;; [unrolled: 1-line block ×4, first 2 shown]
	s_nor_b64 s[66:67], vcc, s[66:67]
	s_nor_b64 s[68:69], vcc, s[68:69]
	s_nor_b64 s[70:71], vcc, s[70:71]
	s_nor_b64 s[72:73], vcc, s[72:73]
	s_nor_b64 s[74:75], vcc, s[74:75]
	v_add_u32_e32 v13, v8, v31
	v_add_u32_e32 v14, v9, v31
	;; [unrolled: 1-line block ×25, first 2 shown]
	s_mov_b32 s92, s22
	v_mov_b32_e32 v38, 0
	s_branch .LBB52_7
.LBB52_6:                               ;   in Loop: Header=BB52_7 Depth=2
	s_or_b64 exec, exec, s[76:77]
	s_add_i32 s92, s92, -1
	v_add_u32_e32 v3, s83, v3
	v_add_u32_e32 v13, s87, v13
	;; [unrolled: 1-line block ×25, first 2 shown]
	s_cmp_eq_u32 s92, 0
	v_add_u32_e32 v39, s87, v39
	s_cbranch_scc1 .LBB52_3
.LBB52_7:                               ;   Parent Loop BB52_4 Depth=1
                                        ; =>  This Inner Loop Header: Depth=2
	v_ashrrev_i32_e32 v4, 31, v3
	s_and_saveexec_b64 s[76:77], s[2:3]
	s_cbranch_execnz .LBB52_32
; %bb.8:                                ;   in Loop: Header=BB52_7 Depth=2
	s_or_b64 exec, exec, s[76:77]
	s_and_saveexec_b64 s[76:77], s[4:5]
	s_cbranch_execnz .LBB52_33
.LBB52_9:                               ;   in Loop: Header=BB52_7 Depth=2
	s_or_b64 exec, exec, s[76:77]
	s_and_saveexec_b64 s[76:77], s[6:7]
	s_cbranch_execnz .LBB52_34
.LBB52_10:                              ;   in Loop: Header=BB52_7 Depth=2
	s_or_b64 exec, exec, s[76:77]
	s_and_saveexec_b64 s[76:77], s[8:9]
	s_cbranch_execnz .LBB52_35
.LBB52_11:                              ;   in Loop: Header=BB52_7 Depth=2
	s_or_b64 exec, exec, s[76:77]
	s_and_saveexec_b64 s[76:77], s[10:11]
	s_cbranch_execnz .LBB52_36
.LBB52_12:                              ;   in Loop: Header=BB52_7 Depth=2
	s_or_b64 exec, exec, s[76:77]
	s_and_saveexec_b64 s[76:77], s[12:13]
	s_cbranch_execnz .LBB52_37
.LBB52_13:                              ;   in Loop: Header=BB52_7 Depth=2
	s_or_b64 exec, exec, s[76:77]
	s_and_saveexec_b64 s[76:77], s[14:15]
	s_cbranch_execnz .LBB52_38
.LBB52_14:                              ;   in Loop: Header=BB52_7 Depth=2
	s_or_b64 exec, exec, s[76:77]
	s_and_saveexec_b64 s[76:77], s[16:17]
	s_cbranch_execnz .LBB52_39
.LBB52_15:                              ;   in Loop: Header=BB52_7 Depth=2
	s_or_b64 exec, exec, s[76:77]
	s_and_saveexec_b64 s[76:77], s[42:43]
	s_cbranch_execnz .LBB52_40
.LBB52_16:                              ;   in Loop: Header=BB52_7 Depth=2
	s_or_b64 exec, exec, s[76:77]
	s_and_saveexec_b64 s[76:77], s[44:45]
	s_cbranch_execnz .LBB52_41
.LBB52_17:                              ;   in Loop: Header=BB52_7 Depth=2
	s_or_b64 exec, exec, s[76:77]
	s_and_saveexec_b64 s[76:77], s[46:47]
	s_cbranch_execnz .LBB52_42
.LBB52_18:                              ;   in Loop: Header=BB52_7 Depth=2
	s_or_b64 exec, exec, s[76:77]
	s_and_saveexec_b64 s[76:77], s[48:49]
	s_cbranch_execnz .LBB52_43
.LBB52_19:                              ;   in Loop: Header=BB52_7 Depth=2
	s_or_b64 exec, exec, s[76:77]
	s_and_saveexec_b64 s[76:77], s[50:51]
	s_cbranch_execnz .LBB52_44
.LBB52_20:                              ;   in Loop: Header=BB52_7 Depth=2
	s_or_b64 exec, exec, s[76:77]
	s_and_saveexec_b64 s[76:77], s[52:53]
	s_cbranch_execnz .LBB52_45
.LBB52_21:                              ;   in Loop: Header=BB52_7 Depth=2
	s_or_b64 exec, exec, s[76:77]
	s_and_saveexec_b64 s[76:77], s[54:55]
	s_cbranch_execnz .LBB52_46
.LBB52_22:                              ;   in Loop: Header=BB52_7 Depth=2
	s_or_b64 exec, exec, s[76:77]
	s_and_saveexec_b64 s[76:77], s[56:57]
	s_cbranch_execnz .LBB52_47
.LBB52_23:                              ;   in Loop: Header=BB52_7 Depth=2
	s_or_b64 exec, exec, s[76:77]
	s_and_saveexec_b64 s[76:77], s[58:59]
	s_cbranch_execnz .LBB52_48
.LBB52_24:                              ;   in Loop: Header=BB52_7 Depth=2
	s_or_b64 exec, exec, s[76:77]
	s_and_saveexec_b64 s[76:77], s[60:61]
	s_cbranch_execnz .LBB52_49
.LBB52_25:                              ;   in Loop: Header=BB52_7 Depth=2
	s_or_b64 exec, exec, s[76:77]
	s_and_saveexec_b64 s[76:77], s[62:63]
	s_cbranch_execnz .LBB52_50
.LBB52_26:                              ;   in Loop: Header=BB52_7 Depth=2
	s_or_b64 exec, exec, s[76:77]
	s_and_saveexec_b64 s[76:77], s[64:65]
	s_cbranch_execnz .LBB52_51
.LBB52_27:                              ;   in Loop: Header=BB52_7 Depth=2
	s_or_b64 exec, exec, s[76:77]
	s_and_saveexec_b64 s[76:77], s[66:67]
	s_cbranch_execnz .LBB52_52
.LBB52_28:                              ;   in Loop: Header=BB52_7 Depth=2
	s_or_b64 exec, exec, s[76:77]
	s_and_saveexec_b64 s[76:77], s[68:69]
	s_cbranch_execnz .LBB52_53
.LBB52_29:                              ;   in Loop: Header=BB52_7 Depth=2
	s_or_b64 exec, exec, s[76:77]
	s_and_saveexec_b64 s[76:77], s[70:71]
	s_cbranch_execnz .LBB52_54
.LBB52_30:                              ;   in Loop: Header=BB52_7 Depth=2
	s_or_b64 exec, exec, s[76:77]
	s_and_saveexec_b64 s[76:77], s[72:73]
	s_cbranch_execnz .LBB52_55
.LBB52_31:                              ;   in Loop: Header=BB52_7 Depth=2
	s_or_b64 exec, exec, s[76:77]
	s_and_saveexec_b64 s[76:77], s[74:75]
	s_cbranch_execz .LBB52_6
	s_branch .LBB52_56
.LBB52_32:                              ;   in Loop: Header=BB52_7 Depth=2
	v_lshlrev_b64 v[41:42], 1, v[3:4]
	v_add_u32_e32 v40, v30, v39
	v_add_co_u32_e32 v43, vcc, s38, v41
	v_ashrrev_i32_e32 v41, 31, v40
	v_mov_b32_e32 v44, s39
	v_lshlrev_b64 v[40:41], 1, v[40:41]
	v_addc_co_u32_e32 v44, vcc, v44, v42, vcc
	v_mov_b32_e32 v42, s35
	v_add_co_u32_e32 v40, vcc, s34, v40
	v_addc_co_u32_e32 v41, vcc, v42, v41, vcc
	global_load_ushort v40, v[40:41], off
	s_nop 0
	global_load_ushort v41, v[43:44], off
	s_waitcnt vmcnt(1)
	v_lshlrev_b32_e32 v40, 16, v40
	s_waitcnt vmcnt(0)
	v_lshlrev_b32_e32 v41, 16, v41
	v_fmac_f32_e32 v38, v41, v40
	s_or_b64 exec, exec, s[76:77]
	s_and_saveexec_b64 s[76:77], s[4:5]
	s_cbranch_execz .LBB52_9
.LBB52_33:                              ;   in Loop: Header=BB52_7 Depth=2
	v_lshlrev_b64 v[41:42], 1, v[3:4]
	v_add_u32_e32 v40, v30, v37
	v_add_co_u32_e32 v43, vcc, s38, v41
	v_ashrrev_i32_e32 v41, 31, v40
	v_mov_b32_e32 v44, s39
	v_lshlrev_b64 v[40:41], 1, v[40:41]
	v_addc_co_u32_e32 v44, vcc, v44, v42, vcc
	v_mov_b32_e32 v42, s35
	v_add_co_u32_e32 v40, vcc, s34, v40
	v_addc_co_u32_e32 v41, vcc, v42, v41, vcc
	global_load_ushort v40, v[40:41], off
	s_nop 0
	global_load_ushort v41, v[43:44], off offset:2
	s_waitcnt vmcnt(1)
	v_lshlrev_b32_e32 v40, 16, v40
	s_waitcnt vmcnt(0)
	v_lshlrev_b32_e32 v41, 16, v41
	v_fmac_f32_e32 v38, v41, v40
	s_or_b64 exec, exec, s[76:77]
	s_and_saveexec_b64 s[76:77], s[6:7]
	s_cbranch_execz .LBB52_10
.LBB52_34:                              ;   in Loop: Header=BB52_7 Depth=2
	v_lshlrev_b64 v[41:42], 1, v[3:4]
	v_add_u32_e32 v40, v30, v36
	v_add_co_u32_e32 v43, vcc, s38, v41
	v_ashrrev_i32_e32 v41, 31, v40
	v_mov_b32_e32 v44, s39
	v_lshlrev_b64 v[40:41], 1, v[40:41]
	v_addc_co_u32_e32 v44, vcc, v44, v42, vcc
	v_mov_b32_e32 v42, s35
	v_add_co_u32_e32 v40, vcc, s34, v40
	v_addc_co_u32_e32 v41, vcc, v42, v41, vcc
	global_load_ushort v40, v[40:41], off
	s_nop 0
	global_load_ushort v41, v[43:44], off offset:4
	s_waitcnt vmcnt(1)
	v_lshlrev_b32_e32 v40, 16, v40
	s_waitcnt vmcnt(0)
	v_lshlrev_b32_e32 v41, 16, v41
	v_fmac_f32_e32 v38, v41, v40
	s_or_b64 exec, exec, s[76:77]
	s_and_saveexec_b64 s[76:77], s[8:9]
	s_cbranch_execz .LBB52_11
.LBB52_35:                              ;   in Loop: Header=BB52_7 Depth=2
	v_lshlrev_b64 v[41:42], 1, v[3:4]
	v_add_u32_e32 v40, v30, v35
	v_add_co_u32_e32 v43, vcc, s38, v41
	v_ashrrev_i32_e32 v41, 31, v40
	v_mov_b32_e32 v44, s39
	v_lshlrev_b64 v[40:41], 1, v[40:41]
	v_addc_co_u32_e32 v44, vcc, v44, v42, vcc
	v_mov_b32_e32 v42, s35
	v_add_co_u32_e32 v40, vcc, s34, v40
	v_addc_co_u32_e32 v41, vcc, v42, v41, vcc
	global_load_ushort v40, v[40:41], off
	s_nop 0
	global_load_ushort v41, v[43:44], off offset:6
	s_waitcnt vmcnt(1)
	v_lshlrev_b32_e32 v40, 16, v40
	s_waitcnt vmcnt(0)
	v_lshlrev_b32_e32 v41, 16, v41
	v_fmac_f32_e32 v38, v41, v40
	s_or_b64 exec, exec, s[76:77]
	s_and_saveexec_b64 s[76:77], s[10:11]
	s_cbranch_execz .LBB52_12
.LBB52_36:                              ;   in Loop: Header=BB52_7 Depth=2
	v_lshlrev_b64 v[41:42], 1, v[3:4]
	v_add_u32_e32 v40, v30, v29
	v_add_co_u32_e32 v43, vcc, s38, v41
	v_ashrrev_i32_e32 v41, 31, v40
	v_mov_b32_e32 v44, s39
	v_lshlrev_b64 v[40:41], 1, v[40:41]
	v_addc_co_u32_e32 v44, vcc, v44, v42, vcc
	v_mov_b32_e32 v42, s35
	v_add_co_u32_e32 v40, vcc, s34, v40
	v_addc_co_u32_e32 v41, vcc, v42, v41, vcc
	global_load_ushort v40, v[40:41], off
	s_nop 0
	global_load_ushort v41, v[43:44], off offset:8
	s_waitcnt vmcnt(1)
	v_lshlrev_b32_e32 v40, 16, v40
	s_waitcnt vmcnt(0)
	v_lshlrev_b32_e32 v41, 16, v41
	v_fmac_f32_e32 v38, v41, v40
	s_or_b64 exec, exec, s[76:77]
	s_and_saveexec_b64 s[76:77], s[12:13]
	s_cbranch_execz .LBB52_13
.LBB52_37:                              ;   in Loop: Header=BB52_7 Depth=2
	v_lshlrev_b64 v[41:42], 1, v[3:4]
	v_add_u32_e32 v40, v30, v34
	v_add_co_u32_e32 v43, vcc, s38, v41
	v_ashrrev_i32_e32 v41, 31, v40
	v_mov_b32_e32 v44, s39
	v_lshlrev_b64 v[40:41], 1, v[40:41]
	v_addc_co_u32_e32 v44, vcc, v44, v42, vcc
	v_mov_b32_e32 v42, s35
	v_add_co_u32_e32 v40, vcc, s34, v40
	v_addc_co_u32_e32 v41, vcc, v42, v41, vcc
	global_load_ushort v40, v[40:41], off
	s_nop 0
	global_load_ushort v41, v[43:44], off offset:10
	s_waitcnt vmcnt(1)
	v_lshlrev_b32_e32 v40, 16, v40
	s_waitcnt vmcnt(0)
	v_lshlrev_b32_e32 v41, 16, v41
	v_fmac_f32_e32 v38, v41, v40
	s_or_b64 exec, exec, s[76:77]
	s_and_saveexec_b64 s[76:77], s[14:15]
	s_cbranch_execz .LBB52_14
.LBB52_38:                              ;   in Loop: Header=BB52_7 Depth=2
	v_lshlrev_b64 v[41:42], 1, v[3:4]
	v_add_u32_e32 v40, v30, v28
	v_add_co_u32_e32 v43, vcc, s38, v41
	v_ashrrev_i32_e32 v41, 31, v40
	v_mov_b32_e32 v44, s39
	v_lshlrev_b64 v[40:41], 1, v[40:41]
	v_addc_co_u32_e32 v44, vcc, v44, v42, vcc
	v_mov_b32_e32 v42, s35
	v_add_co_u32_e32 v40, vcc, s34, v40
	v_addc_co_u32_e32 v41, vcc, v42, v41, vcc
	global_load_ushort v40, v[40:41], off
	s_nop 0
	global_load_ushort v41, v[43:44], off offset:12
	s_waitcnt vmcnt(1)
	v_lshlrev_b32_e32 v40, 16, v40
	s_waitcnt vmcnt(0)
	v_lshlrev_b32_e32 v41, 16, v41
	v_fmac_f32_e32 v38, v41, v40
	s_or_b64 exec, exec, s[76:77]
	s_and_saveexec_b64 s[76:77], s[16:17]
	s_cbranch_execz .LBB52_15
.LBB52_39:                              ;   in Loop: Header=BB52_7 Depth=2
	v_lshlrev_b64 v[41:42], 1, v[3:4]
	v_add_u32_e32 v40, v30, v27
	v_add_co_u32_e32 v43, vcc, s38, v41
	v_ashrrev_i32_e32 v41, 31, v40
	v_mov_b32_e32 v44, s39
	v_lshlrev_b64 v[40:41], 1, v[40:41]
	v_addc_co_u32_e32 v44, vcc, v44, v42, vcc
	v_mov_b32_e32 v42, s35
	v_add_co_u32_e32 v40, vcc, s34, v40
	v_addc_co_u32_e32 v41, vcc, v42, v41, vcc
	global_load_ushort v40, v[40:41], off
	s_nop 0
	global_load_ushort v41, v[43:44], off offset:14
	s_waitcnt vmcnt(1)
	v_lshlrev_b32_e32 v40, 16, v40
	s_waitcnt vmcnt(0)
	v_lshlrev_b32_e32 v41, 16, v41
	v_fmac_f32_e32 v38, v41, v40
	s_or_b64 exec, exec, s[76:77]
	s_and_saveexec_b64 s[76:77], s[42:43]
	s_cbranch_execz .LBB52_16
.LBB52_40:                              ;   in Loop: Header=BB52_7 Depth=2
	v_lshlrev_b64 v[41:42], 1, v[3:4]
	v_add_u32_e32 v40, v30, v26
	v_add_co_u32_e32 v43, vcc, s38, v41
	v_ashrrev_i32_e32 v41, 31, v40
	v_mov_b32_e32 v44, s39
	v_lshlrev_b64 v[40:41], 1, v[40:41]
	v_addc_co_u32_e32 v44, vcc, v44, v42, vcc
	v_mov_b32_e32 v42, s35
	v_add_co_u32_e32 v40, vcc, s34, v40
	v_addc_co_u32_e32 v41, vcc, v42, v41, vcc
	global_load_ushort v40, v[40:41], off
	s_nop 0
	global_load_ushort v41, v[43:44], off offset:16
	s_waitcnt vmcnt(1)
	v_lshlrev_b32_e32 v40, 16, v40
	s_waitcnt vmcnt(0)
	v_lshlrev_b32_e32 v41, 16, v41
	v_fmac_f32_e32 v38, v41, v40
	s_or_b64 exec, exec, s[76:77]
	s_and_saveexec_b64 s[76:77], s[44:45]
	s_cbranch_execz .LBB52_17
.LBB52_41:                              ;   in Loop: Header=BB52_7 Depth=2
	v_lshlrev_b64 v[41:42], 1, v[3:4]
	v_add_u32_e32 v40, v30, v25
	v_add_co_u32_e32 v43, vcc, s38, v41
	v_ashrrev_i32_e32 v41, 31, v40
	v_mov_b32_e32 v44, s39
	v_lshlrev_b64 v[40:41], 1, v[40:41]
	v_addc_co_u32_e32 v44, vcc, v44, v42, vcc
	v_mov_b32_e32 v42, s35
	v_add_co_u32_e32 v40, vcc, s34, v40
	v_addc_co_u32_e32 v41, vcc, v42, v41, vcc
	global_load_ushort v40, v[40:41], off
	s_nop 0
	global_load_ushort v41, v[43:44], off offset:18
	s_waitcnt vmcnt(1)
	v_lshlrev_b32_e32 v40, 16, v40
	s_waitcnt vmcnt(0)
	v_lshlrev_b32_e32 v41, 16, v41
	v_fmac_f32_e32 v38, v41, v40
	s_or_b64 exec, exec, s[76:77]
	s_and_saveexec_b64 s[76:77], s[46:47]
	s_cbranch_execz .LBB52_18
.LBB52_42:                              ;   in Loop: Header=BB52_7 Depth=2
	v_lshlrev_b64 v[41:42], 1, v[3:4]
	v_add_u32_e32 v40, v30, v33
	v_add_co_u32_e32 v43, vcc, s38, v41
	v_ashrrev_i32_e32 v41, 31, v40
	v_mov_b32_e32 v44, s39
	v_lshlrev_b64 v[40:41], 1, v[40:41]
	v_addc_co_u32_e32 v44, vcc, v44, v42, vcc
	v_mov_b32_e32 v42, s35
	v_add_co_u32_e32 v40, vcc, s34, v40
	v_addc_co_u32_e32 v41, vcc, v42, v41, vcc
	global_load_ushort v40, v[40:41], off
	s_nop 0
	global_load_ushort v41, v[43:44], off offset:20
	s_waitcnt vmcnt(1)
	v_lshlrev_b32_e32 v40, 16, v40
	s_waitcnt vmcnt(0)
	v_lshlrev_b32_e32 v41, 16, v41
	v_fmac_f32_e32 v38, v41, v40
	s_or_b64 exec, exec, s[76:77]
	s_and_saveexec_b64 s[76:77], s[48:49]
	s_cbranch_execz .LBB52_19
.LBB52_43:                              ;   in Loop: Header=BB52_7 Depth=2
	v_lshlrev_b64 v[41:42], 1, v[3:4]
	v_add_u32_e32 v40, v30, v24
	v_add_co_u32_e32 v43, vcc, s38, v41
	v_ashrrev_i32_e32 v41, 31, v40
	v_mov_b32_e32 v44, s39
	v_lshlrev_b64 v[40:41], 1, v[40:41]
	v_addc_co_u32_e32 v44, vcc, v44, v42, vcc
	v_mov_b32_e32 v42, s35
	v_add_co_u32_e32 v40, vcc, s34, v40
	v_addc_co_u32_e32 v41, vcc, v42, v41, vcc
	global_load_ushort v40, v[40:41], off
	s_nop 0
	global_load_ushort v41, v[43:44], off offset:22
	s_waitcnt vmcnt(1)
	v_lshlrev_b32_e32 v40, 16, v40
	s_waitcnt vmcnt(0)
	v_lshlrev_b32_e32 v41, 16, v41
	v_fmac_f32_e32 v38, v41, v40
	s_or_b64 exec, exec, s[76:77]
	s_and_saveexec_b64 s[76:77], s[50:51]
	s_cbranch_execz .LBB52_20
.LBB52_44:                              ;   in Loop: Header=BB52_7 Depth=2
	v_lshlrev_b64 v[41:42], 1, v[3:4]
	v_add_u32_e32 v40, v30, v23
	v_add_co_u32_e32 v43, vcc, s38, v41
	v_ashrrev_i32_e32 v41, 31, v40
	v_mov_b32_e32 v44, s39
	v_lshlrev_b64 v[40:41], 1, v[40:41]
	v_addc_co_u32_e32 v44, vcc, v44, v42, vcc
	v_mov_b32_e32 v42, s35
	v_add_co_u32_e32 v40, vcc, s34, v40
	v_addc_co_u32_e32 v41, vcc, v42, v41, vcc
	global_load_ushort v40, v[40:41], off
	s_nop 0
	global_load_ushort v41, v[43:44], off offset:24
	s_waitcnt vmcnt(1)
	v_lshlrev_b32_e32 v40, 16, v40
	s_waitcnt vmcnt(0)
	v_lshlrev_b32_e32 v41, 16, v41
	v_fmac_f32_e32 v38, v41, v40
	s_or_b64 exec, exec, s[76:77]
	s_and_saveexec_b64 s[76:77], s[52:53]
	s_cbranch_execz .LBB52_21
.LBB52_45:                              ;   in Loop: Header=BB52_7 Depth=2
	v_lshlrev_b64 v[41:42], 1, v[3:4]
	v_add_u32_e32 v40, v30, v22
	v_add_co_u32_e32 v43, vcc, s38, v41
	v_ashrrev_i32_e32 v41, 31, v40
	v_mov_b32_e32 v44, s39
	v_lshlrev_b64 v[40:41], 1, v[40:41]
	v_addc_co_u32_e32 v44, vcc, v44, v42, vcc
	v_mov_b32_e32 v42, s35
	v_add_co_u32_e32 v40, vcc, s34, v40
	v_addc_co_u32_e32 v41, vcc, v42, v41, vcc
	global_load_ushort v40, v[40:41], off
	s_nop 0
	global_load_ushort v41, v[43:44], off offset:26
	s_waitcnt vmcnt(1)
	v_lshlrev_b32_e32 v40, 16, v40
	s_waitcnt vmcnt(0)
	v_lshlrev_b32_e32 v41, 16, v41
	v_fmac_f32_e32 v38, v41, v40
	s_or_b64 exec, exec, s[76:77]
	s_and_saveexec_b64 s[76:77], s[54:55]
	s_cbranch_execz .LBB52_22
.LBB52_46:                              ;   in Loop: Header=BB52_7 Depth=2
	v_lshlrev_b64 v[41:42], 1, v[3:4]
	v_add_u32_e32 v40, v30, v21
	v_add_co_u32_e32 v43, vcc, s38, v41
	v_ashrrev_i32_e32 v41, 31, v40
	v_mov_b32_e32 v44, s39
	v_lshlrev_b64 v[40:41], 1, v[40:41]
	v_addc_co_u32_e32 v44, vcc, v44, v42, vcc
	v_mov_b32_e32 v42, s35
	v_add_co_u32_e32 v40, vcc, s34, v40
	v_addc_co_u32_e32 v41, vcc, v42, v41, vcc
	global_load_ushort v40, v[40:41], off
	s_nop 0
	global_load_ushort v41, v[43:44], off offset:28
	s_waitcnt vmcnt(1)
	v_lshlrev_b32_e32 v40, 16, v40
	s_waitcnt vmcnt(0)
	v_lshlrev_b32_e32 v41, 16, v41
	v_fmac_f32_e32 v38, v41, v40
	s_or_b64 exec, exec, s[76:77]
	s_and_saveexec_b64 s[76:77], s[56:57]
	s_cbranch_execz .LBB52_23
.LBB52_47:                              ;   in Loop: Header=BB52_7 Depth=2
	v_lshlrev_b64 v[41:42], 1, v[3:4]
	v_add_u32_e32 v40, v30, v32
	v_add_co_u32_e32 v43, vcc, s38, v41
	v_ashrrev_i32_e32 v41, 31, v40
	v_mov_b32_e32 v44, s39
	v_lshlrev_b64 v[40:41], 1, v[40:41]
	v_addc_co_u32_e32 v44, vcc, v44, v42, vcc
	v_mov_b32_e32 v42, s35
	v_add_co_u32_e32 v40, vcc, s34, v40
	v_addc_co_u32_e32 v41, vcc, v42, v41, vcc
	global_load_ushort v40, v[40:41], off
	s_nop 0
	global_load_ushort v41, v[43:44], off offset:30
	s_waitcnt vmcnt(1)
	v_lshlrev_b32_e32 v40, 16, v40
	s_waitcnt vmcnt(0)
	v_lshlrev_b32_e32 v41, 16, v41
	v_fmac_f32_e32 v38, v41, v40
	s_or_b64 exec, exec, s[76:77]
	s_and_saveexec_b64 s[76:77], s[58:59]
	s_cbranch_execz .LBB52_24
.LBB52_48:                              ;   in Loop: Header=BB52_7 Depth=2
	v_lshlrev_b64 v[41:42], 1, v[3:4]
	v_add_u32_e32 v40, v30, v20
	v_add_co_u32_e32 v43, vcc, s38, v41
	v_ashrrev_i32_e32 v41, 31, v40
	v_mov_b32_e32 v44, s39
	v_lshlrev_b64 v[40:41], 1, v[40:41]
	v_addc_co_u32_e32 v44, vcc, v44, v42, vcc
	v_mov_b32_e32 v42, s35
	v_add_co_u32_e32 v40, vcc, s34, v40
	v_addc_co_u32_e32 v41, vcc, v42, v41, vcc
	global_load_ushort v40, v[40:41], off
	s_nop 0
	global_load_ushort v41, v[43:44], off offset:32
	s_waitcnt vmcnt(1)
	v_lshlrev_b32_e32 v40, 16, v40
	s_waitcnt vmcnt(0)
	v_lshlrev_b32_e32 v41, 16, v41
	v_fmac_f32_e32 v38, v41, v40
	s_or_b64 exec, exec, s[76:77]
	s_and_saveexec_b64 s[76:77], s[60:61]
	s_cbranch_execz .LBB52_25
.LBB52_49:                              ;   in Loop: Header=BB52_7 Depth=2
	v_lshlrev_b64 v[41:42], 1, v[3:4]
	v_add_u32_e32 v40, v30, v19
	v_add_co_u32_e32 v43, vcc, s38, v41
	v_ashrrev_i32_e32 v41, 31, v40
	v_mov_b32_e32 v44, s39
	v_lshlrev_b64 v[40:41], 1, v[40:41]
	v_addc_co_u32_e32 v44, vcc, v44, v42, vcc
	v_mov_b32_e32 v42, s35
	v_add_co_u32_e32 v40, vcc, s34, v40
	v_addc_co_u32_e32 v41, vcc, v42, v41, vcc
	global_load_ushort v40, v[40:41], off
	s_nop 0
	global_load_ushort v41, v[43:44], off offset:34
	s_waitcnt vmcnt(1)
	v_lshlrev_b32_e32 v40, 16, v40
	s_waitcnt vmcnt(0)
	v_lshlrev_b32_e32 v41, 16, v41
	v_fmac_f32_e32 v38, v41, v40
	s_or_b64 exec, exec, s[76:77]
	s_and_saveexec_b64 s[76:77], s[62:63]
	s_cbranch_execz .LBB52_26
.LBB52_50:                              ;   in Loop: Header=BB52_7 Depth=2
	v_lshlrev_b64 v[41:42], 1, v[3:4]
	v_add_u32_e32 v40, v30, v18
	v_add_co_u32_e32 v43, vcc, s38, v41
	v_ashrrev_i32_e32 v41, 31, v40
	v_mov_b32_e32 v44, s39
	v_lshlrev_b64 v[40:41], 1, v[40:41]
	v_addc_co_u32_e32 v44, vcc, v44, v42, vcc
	v_mov_b32_e32 v42, s35
	v_add_co_u32_e32 v40, vcc, s34, v40
	v_addc_co_u32_e32 v41, vcc, v42, v41, vcc
	global_load_ushort v40, v[40:41], off
	s_nop 0
	global_load_ushort v41, v[43:44], off offset:36
	s_waitcnt vmcnt(1)
	v_lshlrev_b32_e32 v40, 16, v40
	s_waitcnt vmcnt(0)
	v_lshlrev_b32_e32 v41, 16, v41
	v_fmac_f32_e32 v38, v41, v40
	s_or_b64 exec, exec, s[76:77]
	s_and_saveexec_b64 s[76:77], s[64:65]
	s_cbranch_execz .LBB52_27
.LBB52_51:                              ;   in Loop: Header=BB52_7 Depth=2
	v_lshlrev_b64 v[41:42], 1, v[3:4]
	v_add_u32_e32 v40, v30, v17
	v_add_co_u32_e32 v43, vcc, s38, v41
	v_ashrrev_i32_e32 v41, 31, v40
	v_mov_b32_e32 v44, s39
	v_lshlrev_b64 v[40:41], 1, v[40:41]
	v_addc_co_u32_e32 v44, vcc, v44, v42, vcc
	v_mov_b32_e32 v42, s35
	v_add_co_u32_e32 v40, vcc, s34, v40
	v_addc_co_u32_e32 v41, vcc, v42, v41, vcc
	global_load_ushort v40, v[40:41], off
	s_nop 0
	global_load_ushort v41, v[43:44], off offset:38
	s_waitcnt vmcnt(1)
	v_lshlrev_b32_e32 v40, 16, v40
	s_waitcnt vmcnt(0)
	v_lshlrev_b32_e32 v41, 16, v41
	v_fmac_f32_e32 v38, v41, v40
	s_or_b64 exec, exec, s[76:77]
	s_and_saveexec_b64 s[76:77], s[66:67]
	s_cbranch_execz .LBB52_28
.LBB52_52:                              ;   in Loop: Header=BB52_7 Depth=2
	v_lshlrev_b64 v[41:42], 1, v[3:4]
	v_add_u32_e32 v40, v30, v31
	v_add_co_u32_e32 v43, vcc, s38, v41
	v_ashrrev_i32_e32 v41, 31, v40
	v_mov_b32_e32 v44, s39
	v_lshlrev_b64 v[40:41], 1, v[40:41]
	v_addc_co_u32_e32 v44, vcc, v44, v42, vcc
	v_mov_b32_e32 v42, s35
	v_add_co_u32_e32 v40, vcc, s34, v40
	v_addc_co_u32_e32 v41, vcc, v42, v41, vcc
	global_load_ushort v40, v[40:41], off
	s_nop 0
	global_load_ushort v41, v[43:44], off offset:40
	s_waitcnt vmcnt(1)
	v_lshlrev_b32_e32 v40, 16, v40
	s_waitcnt vmcnt(0)
	v_lshlrev_b32_e32 v41, 16, v41
	v_fmac_f32_e32 v38, v41, v40
	s_or_b64 exec, exec, s[76:77]
	s_and_saveexec_b64 s[76:77], s[68:69]
	s_cbranch_execz .LBB52_29
.LBB52_53:                              ;   in Loop: Header=BB52_7 Depth=2
	v_lshlrev_b64 v[41:42], 1, v[3:4]
	v_add_u32_e32 v40, v30, v16
	v_add_co_u32_e32 v43, vcc, s38, v41
	v_ashrrev_i32_e32 v41, 31, v40
	v_mov_b32_e32 v44, s39
	v_lshlrev_b64 v[40:41], 1, v[40:41]
	v_addc_co_u32_e32 v44, vcc, v44, v42, vcc
	v_mov_b32_e32 v42, s35
	v_add_co_u32_e32 v40, vcc, s34, v40
	v_addc_co_u32_e32 v41, vcc, v42, v41, vcc
	global_load_ushort v40, v[40:41], off
	s_nop 0
	global_load_ushort v41, v[43:44], off offset:42
	s_waitcnt vmcnt(1)
	v_lshlrev_b32_e32 v40, 16, v40
	s_waitcnt vmcnt(0)
	v_lshlrev_b32_e32 v41, 16, v41
	v_fmac_f32_e32 v38, v41, v40
	s_or_b64 exec, exec, s[76:77]
	s_and_saveexec_b64 s[76:77], s[70:71]
	s_cbranch_execz .LBB52_30
.LBB52_54:                              ;   in Loop: Header=BB52_7 Depth=2
	v_lshlrev_b64 v[41:42], 1, v[3:4]
	v_add_u32_e32 v40, v30, v15
	v_add_co_u32_e32 v43, vcc, s38, v41
	v_ashrrev_i32_e32 v41, 31, v40
	v_mov_b32_e32 v44, s39
	v_lshlrev_b64 v[40:41], 1, v[40:41]
	v_addc_co_u32_e32 v44, vcc, v44, v42, vcc
	v_mov_b32_e32 v42, s35
	v_add_co_u32_e32 v40, vcc, s34, v40
	v_addc_co_u32_e32 v41, vcc, v42, v41, vcc
	global_load_ushort v40, v[40:41], off
	s_nop 0
	global_load_ushort v41, v[43:44], off offset:44
	s_waitcnt vmcnt(1)
	v_lshlrev_b32_e32 v40, 16, v40
	s_waitcnt vmcnt(0)
	v_lshlrev_b32_e32 v41, 16, v41
	v_fmac_f32_e32 v38, v41, v40
	s_or_b64 exec, exec, s[76:77]
	s_and_saveexec_b64 s[76:77], s[72:73]
	s_cbranch_execz .LBB52_31
.LBB52_55:                              ;   in Loop: Header=BB52_7 Depth=2
	v_lshlrev_b64 v[41:42], 1, v[3:4]
	v_add_u32_e32 v40, v30, v14
	v_add_co_u32_e32 v43, vcc, s38, v41
	v_ashrrev_i32_e32 v41, 31, v40
	v_mov_b32_e32 v44, s39
	v_lshlrev_b64 v[40:41], 1, v[40:41]
	v_addc_co_u32_e32 v44, vcc, v44, v42, vcc
	v_mov_b32_e32 v42, s35
	v_add_co_u32_e32 v40, vcc, s34, v40
	v_addc_co_u32_e32 v41, vcc, v42, v41, vcc
	global_load_ushort v40, v[40:41], off
	s_nop 0
	global_load_ushort v41, v[43:44], off offset:46
	s_waitcnt vmcnt(1)
	v_lshlrev_b32_e32 v40, 16, v40
	s_waitcnt vmcnt(0)
	v_lshlrev_b32_e32 v41, 16, v41
	v_fmac_f32_e32 v38, v41, v40
	s_or_b64 exec, exec, s[76:77]
	s_and_saveexec_b64 s[76:77], s[74:75]
	s_cbranch_execz .LBB52_6
.LBB52_56:                              ;   in Loop: Header=BB52_7 Depth=2
	v_lshlrev_b64 v[41:42], 1, v[3:4]
	v_add_u32_e32 v40, v30, v13
	v_add_co_u32_e32 v43, vcc, s38, v41
	v_ashrrev_i32_e32 v41, 31, v40
	v_mov_b32_e32 v4, s39
	v_lshlrev_b64 v[40:41], 1, v[40:41]
	v_addc_co_u32_e32 v44, vcc, v4, v42, vcc
	v_mov_b32_e32 v4, s35
	v_add_co_u32_e32 v40, vcc, s34, v40
	v_addc_co_u32_e32 v41, vcc, v4, v41, vcc
	global_load_ushort v4, v[40:41], off
	s_nop 0
	global_load_ushort v40, v[43:44], off offset:48
	s_waitcnt vmcnt(1)
	v_lshlrev_b32_e32 v4, 16, v4
	s_waitcnt vmcnt(0)
	v_lshlrev_b32_e32 v40, 16, v40
	v_fmac_f32_e32 v38, v40, v4
	s_branch .LBB52_6
.LBB52_57:
	s_endpgm
	.section	.rodata,"a",@progbits
	.p2align	6, 0x0
	.amdhsa_kernel _ZN2at6native12_GLOBAL__N_132conv_depthwise2d_backward_kernelILi5ELi1EN3c108BFloat16EiEEvN5torch10headeronly6detail27GenericPackedTensorAccessorINS7_14TensorAccessorINS3_8ArrayRefIlEEKT1_Lm3ENS6_16DefaultPtrTraitsEiEENS_6detail16IndexBoundsCheckILm4EiEESD_Lm4ESE_iEENS8_INS9_ISB_SC_Lm3ESE_iEESI_SC_Lm4ESE_iEESJ_T2_iiiiiiiiiiiiiii
		.amdhsa_group_segment_fixed_size 0
		.amdhsa_private_segment_fixed_size 0
		.amdhsa_kernarg_size 440
		.amdhsa_user_sgpr_count 6
		.amdhsa_user_sgpr_private_segment_buffer 1
		.amdhsa_user_sgpr_dispatch_ptr 0
		.amdhsa_user_sgpr_queue_ptr 0
		.amdhsa_user_sgpr_kernarg_segment_ptr 1
		.amdhsa_user_sgpr_dispatch_id 0
		.amdhsa_user_sgpr_flat_scratch_init 0
		.amdhsa_user_sgpr_private_segment_size 0
		.amdhsa_uses_dynamic_stack 0
		.amdhsa_system_sgpr_private_segment_wavefront_offset 0
		.amdhsa_system_sgpr_workgroup_id_x 1
		.amdhsa_system_sgpr_workgroup_id_y 0
		.amdhsa_system_sgpr_workgroup_id_z 0
		.amdhsa_system_sgpr_workgroup_info 0
		.amdhsa_system_vgpr_workitem_id 0
		.amdhsa_next_free_vgpr 46
		.amdhsa_next_free_sgpr 96
		.amdhsa_reserve_vcc 1
		.amdhsa_reserve_flat_scratch 0
		.amdhsa_float_round_mode_32 0
		.amdhsa_float_round_mode_16_64 0
		.amdhsa_float_denorm_mode_32 3
		.amdhsa_float_denorm_mode_16_64 3
		.amdhsa_dx10_clamp 1
		.amdhsa_ieee_mode 1
		.amdhsa_fp16_overflow 0
		.amdhsa_exception_fp_ieee_invalid_op 0
		.amdhsa_exception_fp_denorm_src 0
		.amdhsa_exception_fp_ieee_div_zero 0
		.amdhsa_exception_fp_ieee_overflow 0
		.amdhsa_exception_fp_ieee_underflow 0
		.amdhsa_exception_fp_ieee_inexact 0
		.amdhsa_exception_int_div_zero 0
	.end_amdhsa_kernel
	.section	.text._ZN2at6native12_GLOBAL__N_132conv_depthwise2d_backward_kernelILi5ELi1EN3c108BFloat16EiEEvN5torch10headeronly6detail27GenericPackedTensorAccessorINS7_14TensorAccessorINS3_8ArrayRefIlEEKT1_Lm3ENS6_16DefaultPtrTraitsEiEENS_6detail16IndexBoundsCheckILm4EiEESD_Lm4ESE_iEENS8_INS9_ISB_SC_Lm3ESE_iEESI_SC_Lm4ESE_iEESJ_T2_iiiiiiiiiiiiiii,"axG",@progbits,_ZN2at6native12_GLOBAL__N_132conv_depthwise2d_backward_kernelILi5ELi1EN3c108BFloat16EiEEvN5torch10headeronly6detail27GenericPackedTensorAccessorINS7_14TensorAccessorINS3_8ArrayRefIlEEKT1_Lm3ENS6_16DefaultPtrTraitsEiEENS_6detail16IndexBoundsCheckILm4EiEESD_Lm4ESE_iEENS8_INS9_ISB_SC_Lm3ESE_iEESI_SC_Lm4ESE_iEESJ_T2_iiiiiiiiiiiiiii,comdat
.Lfunc_end52:
	.size	_ZN2at6native12_GLOBAL__N_132conv_depthwise2d_backward_kernelILi5ELi1EN3c108BFloat16EiEEvN5torch10headeronly6detail27GenericPackedTensorAccessorINS7_14TensorAccessorINS3_8ArrayRefIlEEKT1_Lm3ENS6_16DefaultPtrTraitsEiEENS_6detail16IndexBoundsCheckILm4EiEESD_Lm4ESE_iEENS8_INS9_ISB_SC_Lm3ESE_iEESI_SC_Lm4ESE_iEESJ_T2_iiiiiiiiiiiiiii, .Lfunc_end52-_ZN2at6native12_GLOBAL__N_132conv_depthwise2d_backward_kernelILi5ELi1EN3c108BFloat16EiEEvN5torch10headeronly6detail27GenericPackedTensorAccessorINS7_14TensorAccessorINS3_8ArrayRefIlEEKT1_Lm3ENS6_16DefaultPtrTraitsEiEENS_6detail16IndexBoundsCheckILm4EiEESD_Lm4ESE_iEENS8_INS9_ISB_SC_Lm3ESE_iEESI_SC_Lm4ESE_iEESJ_T2_iiiiiiiiiiiiiii
                                        ; -- End function
	.set _ZN2at6native12_GLOBAL__N_132conv_depthwise2d_backward_kernelILi5ELi1EN3c108BFloat16EiEEvN5torch10headeronly6detail27GenericPackedTensorAccessorINS7_14TensorAccessorINS3_8ArrayRefIlEEKT1_Lm3ENS6_16DefaultPtrTraitsEiEENS_6detail16IndexBoundsCheckILm4EiEESD_Lm4ESE_iEENS8_INS9_ISB_SC_Lm3ESE_iEESI_SC_Lm4ESE_iEESJ_T2_iiiiiiiiiiiiiii.num_vgpr, 46
	.set _ZN2at6native12_GLOBAL__N_132conv_depthwise2d_backward_kernelILi5ELi1EN3c108BFloat16EiEEvN5torch10headeronly6detail27GenericPackedTensorAccessorINS7_14TensorAccessorINS3_8ArrayRefIlEEKT1_Lm3ENS6_16DefaultPtrTraitsEiEENS_6detail16IndexBoundsCheckILm4EiEESD_Lm4ESE_iEENS8_INS9_ISB_SC_Lm3ESE_iEESI_SC_Lm4ESE_iEESJ_T2_iiiiiiiiiiiiiii.num_agpr, 0
	.set _ZN2at6native12_GLOBAL__N_132conv_depthwise2d_backward_kernelILi5ELi1EN3c108BFloat16EiEEvN5torch10headeronly6detail27GenericPackedTensorAccessorINS7_14TensorAccessorINS3_8ArrayRefIlEEKT1_Lm3ENS6_16DefaultPtrTraitsEiEENS_6detail16IndexBoundsCheckILm4EiEESD_Lm4ESE_iEENS8_INS9_ISB_SC_Lm3ESE_iEESI_SC_Lm4ESE_iEESJ_T2_iiiiiiiiiiiiiii.numbered_sgpr, 96
	.set _ZN2at6native12_GLOBAL__N_132conv_depthwise2d_backward_kernelILi5ELi1EN3c108BFloat16EiEEvN5torch10headeronly6detail27GenericPackedTensorAccessorINS7_14TensorAccessorINS3_8ArrayRefIlEEKT1_Lm3ENS6_16DefaultPtrTraitsEiEENS_6detail16IndexBoundsCheckILm4EiEESD_Lm4ESE_iEENS8_INS9_ISB_SC_Lm3ESE_iEESI_SC_Lm4ESE_iEESJ_T2_iiiiiiiiiiiiiii.num_named_barrier, 0
	.set _ZN2at6native12_GLOBAL__N_132conv_depthwise2d_backward_kernelILi5ELi1EN3c108BFloat16EiEEvN5torch10headeronly6detail27GenericPackedTensorAccessorINS7_14TensorAccessorINS3_8ArrayRefIlEEKT1_Lm3ENS6_16DefaultPtrTraitsEiEENS_6detail16IndexBoundsCheckILm4EiEESD_Lm4ESE_iEENS8_INS9_ISB_SC_Lm3ESE_iEESI_SC_Lm4ESE_iEESJ_T2_iiiiiiiiiiiiiii.private_seg_size, 0
	.set _ZN2at6native12_GLOBAL__N_132conv_depthwise2d_backward_kernelILi5ELi1EN3c108BFloat16EiEEvN5torch10headeronly6detail27GenericPackedTensorAccessorINS7_14TensorAccessorINS3_8ArrayRefIlEEKT1_Lm3ENS6_16DefaultPtrTraitsEiEENS_6detail16IndexBoundsCheckILm4EiEESD_Lm4ESE_iEENS8_INS9_ISB_SC_Lm3ESE_iEESI_SC_Lm4ESE_iEESJ_T2_iiiiiiiiiiiiiii.uses_vcc, 1
	.set _ZN2at6native12_GLOBAL__N_132conv_depthwise2d_backward_kernelILi5ELi1EN3c108BFloat16EiEEvN5torch10headeronly6detail27GenericPackedTensorAccessorINS7_14TensorAccessorINS3_8ArrayRefIlEEKT1_Lm3ENS6_16DefaultPtrTraitsEiEENS_6detail16IndexBoundsCheckILm4EiEESD_Lm4ESE_iEENS8_INS9_ISB_SC_Lm3ESE_iEESI_SC_Lm4ESE_iEESJ_T2_iiiiiiiiiiiiiii.uses_flat_scratch, 0
	.set _ZN2at6native12_GLOBAL__N_132conv_depthwise2d_backward_kernelILi5ELi1EN3c108BFloat16EiEEvN5torch10headeronly6detail27GenericPackedTensorAccessorINS7_14TensorAccessorINS3_8ArrayRefIlEEKT1_Lm3ENS6_16DefaultPtrTraitsEiEENS_6detail16IndexBoundsCheckILm4EiEESD_Lm4ESE_iEENS8_INS9_ISB_SC_Lm3ESE_iEESI_SC_Lm4ESE_iEESJ_T2_iiiiiiiiiiiiiii.has_dyn_sized_stack, 0
	.set _ZN2at6native12_GLOBAL__N_132conv_depthwise2d_backward_kernelILi5ELi1EN3c108BFloat16EiEEvN5torch10headeronly6detail27GenericPackedTensorAccessorINS7_14TensorAccessorINS3_8ArrayRefIlEEKT1_Lm3ENS6_16DefaultPtrTraitsEiEENS_6detail16IndexBoundsCheckILm4EiEESD_Lm4ESE_iEENS8_INS9_ISB_SC_Lm3ESE_iEESI_SC_Lm4ESE_iEESJ_T2_iiiiiiiiiiiiiii.has_recursion, 0
	.set _ZN2at6native12_GLOBAL__N_132conv_depthwise2d_backward_kernelILi5ELi1EN3c108BFloat16EiEEvN5torch10headeronly6detail27GenericPackedTensorAccessorINS7_14TensorAccessorINS3_8ArrayRefIlEEKT1_Lm3ENS6_16DefaultPtrTraitsEiEENS_6detail16IndexBoundsCheckILm4EiEESD_Lm4ESE_iEENS8_INS9_ISB_SC_Lm3ESE_iEESI_SC_Lm4ESE_iEESJ_T2_iiiiiiiiiiiiiii.has_indirect_call, 0
	.section	.AMDGPU.csdata,"",@progbits
; Kernel info:
; codeLenInByte = 4524
; TotalNumSgprs: 100
; NumVgprs: 46
; ScratchSize: 0
; MemoryBound: 0
; FloatMode: 240
; IeeeMode: 1
; LDSByteSize: 0 bytes/workgroup (compile time only)
; SGPRBlocks: 12
; VGPRBlocks: 11
; NumSGPRsForWavesPerEU: 100
; NumVGPRsForWavesPerEU: 46
; Occupancy: 5
; WaveLimiterHint : 0
; COMPUTE_PGM_RSRC2:SCRATCH_EN: 0
; COMPUTE_PGM_RSRC2:USER_SGPR: 6
; COMPUTE_PGM_RSRC2:TRAP_HANDLER: 0
; COMPUTE_PGM_RSRC2:TGID_X_EN: 1
; COMPUTE_PGM_RSRC2:TGID_Y_EN: 0
; COMPUTE_PGM_RSRC2:TGID_Z_EN: 0
; COMPUTE_PGM_RSRC2:TIDIG_COMP_CNT: 0
	.section	.text._ZN2at6native12_GLOBAL__N_132conv_depthwise2d_backward_kernelILi5ELi2EN3c108BFloat16EiEEvN5torch10headeronly6detail27GenericPackedTensorAccessorINS7_14TensorAccessorINS3_8ArrayRefIlEEKT1_Lm3ENS6_16DefaultPtrTraitsEiEENS_6detail16IndexBoundsCheckILm4EiEESD_Lm4ESE_iEENS8_INS9_ISB_SC_Lm3ESE_iEESI_SC_Lm4ESE_iEESJ_T2_iiiiiiiiiiiiiii,"axG",@progbits,_ZN2at6native12_GLOBAL__N_132conv_depthwise2d_backward_kernelILi5ELi2EN3c108BFloat16EiEEvN5torch10headeronly6detail27GenericPackedTensorAccessorINS7_14TensorAccessorINS3_8ArrayRefIlEEKT1_Lm3ENS6_16DefaultPtrTraitsEiEENS_6detail16IndexBoundsCheckILm4EiEESD_Lm4ESE_iEENS8_INS9_ISB_SC_Lm3ESE_iEESI_SC_Lm4ESE_iEESJ_T2_iiiiiiiiiiiiiii,comdat
	.globl	_ZN2at6native12_GLOBAL__N_132conv_depthwise2d_backward_kernelILi5ELi2EN3c108BFloat16EiEEvN5torch10headeronly6detail27GenericPackedTensorAccessorINS7_14TensorAccessorINS3_8ArrayRefIlEEKT1_Lm3ENS6_16DefaultPtrTraitsEiEENS_6detail16IndexBoundsCheckILm4EiEESD_Lm4ESE_iEENS8_INS9_ISB_SC_Lm3ESE_iEESI_SC_Lm4ESE_iEESJ_T2_iiiiiiiiiiiiiii ; -- Begin function _ZN2at6native12_GLOBAL__N_132conv_depthwise2d_backward_kernelILi5ELi2EN3c108BFloat16EiEEvN5torch10headeronly6detail27GenericPackedTensorAccessorINS7_14TensorAccessorINS3_8ArrayRefIlEEKT1_Lm3ENS6_16DefaultPtrTraitsEiEENS_6detail16IndexBoundsCheckILm4EiEESD_Lm4ESE_iEENS8_INS9_ISB_SC_Lm3ESE_iEESI_SC_Lm4ESE_iEESJ_T2_iiiiiiiiiiiiiii
	.p2align	8
	.type	_ZN2at6native12_GLOBAL__N_132conv_depthwise2d_backward_kernelILi5ELi2EN3c108BFloat16EiEEvN5torch10headeronly6detail27GenericPackedTensorAccessorINS7_14TensorAccessorINS3_8ArrayRefIlEEKT1_Lm3ENS6_16DefaultPtrTraitsEiEENS_6detail16IndexBoundsCheckILm4EiEESD_Lm4ESE_iEENS8_INS9_ISB_SC_Lm3ESE_iEESI_SC_Lm4ESE_iEESJ_T2_iiiiiiiiiiiiiii,@function
_ZN2at6native12_GLOBAL__N_132conv_depthwise2d_backward_kernelILi5ELi2EN3c108BFloat16EiEEvN5torch10headeronly6detail27GenericPackedTensorAccessorINS7_14TensorAccessorINS3_8ArrayRefIlEEKT1_Lm3ENS6_16DefaultPtrTraitsEiEENS_6detail16IndexBoundsCheckILm4EiEESD_Lm4ESE_iEENS8_INS9_ISB_SC_Lm3ESE_iEESI_SC_Lm4ESE_iEESJ_T2_iiiiiiiiiiiiiii: ; @_ZN2at6native12_GLOBAL__N_132conv_depthwise2d_backward_kernelILi5ELi2EN3c108BFloat16EiEEvN5torch10headeronly6detail27GenericPackedTensorAccessorINS7_14TensorAccessorINS3_8ArrayRefIlEEKT1_Lm3ENS6_16DefaultPtrTraitsEiEENS_6detail16IndexBoundsCheckILm4EiEESD_Lm4ESE_iEENS8_INS9_ISB_SC_Lm3ESE_iEESI_SC_Lm4ESE_iEESJ_T2_iiiiiiiiiiiiiii
; %bb.0:
	s_load_dword s2, s[4:5], 0xc4
	s_load_dwordx8 s[8:15], s[4:5], 0x78
	s_add_u32 s0, s4, 0xb8
	s_addc_u32 s1, s5, 0
	v_mov_b32_e32 v1, 0
	s_waitcnt lgkmcnt(0)
	s_and_b32 s2, s2, 0xffff
	v_mov_b32_e32 v2, s6
	v_mad_u64_u32 v[0:1], s[6:7], s2, v2, v[0:1]
	s_ashr_i32 s7, s8, 31
	s_mov_b32 s6, s8
	v_cmp_gt_i64_e32 vcc, s[6:7], v[0:1]
	s_and_saveexec_b64 s[16:17], vcc
	s_cbranch_execz .LBB53_57
; %bb.1:
	s_cmp_gt_i32 s10, 0
	s_cselect_b64 s[28:29], -1, 0
	s_abs_i32 s8, s12
	v_cvt_f32_u32_e32 v2, s8
	s_abs_i32 s33, s13
	v_cvt_f32_u32_e32 v3, s33
	s_abs_i32 s82, s9
	v_rcp_iflag_f32_e32 v2, v2
	v_cvt_f32_u32_e32 v4, s82
	v_rcp_iflag_f32_e32 v3, v3
	s_load_dwordx2 s[26:27], s[4:5], 0x98
	s_load_dwordx2 s[20:21], s[4:5], 0x0
	;; [unrolled: 1-line block ×4, first 2 shown]
	s_load_dword s3, s[0:1], 0x0
	v_mul_f32_e32 v2, 0x4f7ffffe, v2
	v_rcp_iflag_f32_e32 v4, v4
	v_cvt_u32_f32_e32 v2, v2
	v_mul_f32_e32 v3, 0x4f7ffffe, v3
	s_sub_i32 s0, 0, s8
	v_cvt_u32_f32_e32 v3, v3
	v_mul_f32_e32 v4, 0x4f7ffffe, v4
	v_mul_lo_u32 v5, s0, v2
	v_cvt_u32_f32_e32 v6, v4
	s_sub_i32 s0, 0, s33
	v_mul_lo_u32 v4, s0, v3
	s_sub_i32 s0, 0, s82
	v_mul_hi_u32 v5, v2, v5
	v_mul_lo_u32 v7, s0, v6
	v_mul_hi_u32 v8, v3, v4
	s_load_dwordx4 s[16:19], s[4:5], 0xa8
	v_add_u32_e32 v4, v2, v5
	v_mul_hi_u32 v2, v6, v7
	s_waitcnt lgkmcnt(0)
	s_mul_i32 s87, s27, s26
	s_mul_i32 s83, s3, s2
	s_ashr_i32 s84, s12, 31
	v_add_u32_e32 v6, v6, v2
	v_cndmask_b32_e64 v2, 0, 1, s[28:29]
	s_ashr_i32 s85, s13, 31
	v_add_u32_e32 v5, v3, v8
	s_ashr_i32 s86, s9, 31
	s_mul_i32 s88, s87, s10
	s_mul_i32 s89, s15, s14
	s_mov_b64 s[26:27], 0
	v_cmp_ne_u32_e64 s[0:1], 1, v2
	s_movk_i32 s90, 0x7fff
	v_mov_b32_e32 v7, 0x7fc0
	s_branch .LBB53_4
.LBB53_2:                               ;   in Loop: Header=BB53_4 Depth=1
	v_mov_b32_e32 v32, 0
.LBB53_3:                               ;   in Loop: Header=BB53_4 Depth=1
	v_bfe_u32 v2, v32, 16, 1
	v_add3_u32 v2, v32, v2, s90
	v_cmp_o_f32_e32 vcc, v32, v32
	v_cndmask_b32_sdwa v8, v7, v2, vcc dst_sel:DWORD dst_unused:UNUSED_PAD src0_sel:DWORD src1_sel:WORD_1
	v_lshlrev_b64 v[2:3], 1, v[0:1]
	v_add_co_u32_e32 v0, vcc, s83, v0
	v_addc_co_u32_e32 v1, vcc, 0, v1, vcc
	v_cmp_le_i64_e32 vcc, s[6:7], v[0:1]
	v_mov_b32_e32 v9, s23
	v_add_co_u32_e64 v2, s[2:3], s22, v2
	v_addc_co_u32_e64 v3, s[2:3], v9, v3, s[2:3]
	s_or_b64 s[26:27], vcc, s[26:27]
	global_store_short v[2:3], v8, off
	s_andn2_b64 exec, exec, s[26:27]
	s_cbranch_execz .LBB53_57
.LBB53_4:                               ; =>This Loop Header: Depth=1
                                        ;     Child Loop BB53_7 Depth 2
	s_and_b64 vcc, exec, s[0:1]
	s_cbranch_vccnz .LBB53_2
; %bb.5:                                ;   in Loop: Header=BB53_4 Depth=1
	v_sub_u32_e32 v2, 0, v0
	v_max_i32_e32 v2, v0, v2
	v_mul_hi_u32 v3, v2, v4
	v_ashrrev_i32_e32 v9, 31, v0
	v_xor_b32_e32 v9, s84, v9
	v_add_u32_e32 v16, s16, v0
	v_mul_lo_u32 v8, v3, s8
	v_add_u32_e32 v10, 1, v3
	v_sub_u32_e32 v2, v2, v8
	v_cmp_le_u32_e32 vcc, s8, v2
	v_subrev_u32_e32 v8, s8, v2
	v_cndmask_b32_e32 v3, v3, v10, vcc
	v_cndmask_b32_e32 v2, v2, v8, vcc
	v_add_u32_e32 v8, 1, v3
	v_cmp_le_u32_e32 vcc, s8, v2
	v_cndmask_b32_e32 v2, v3, v8, vcc
	v_xor_b32_e32 v2, v2, v9
	v_sub_u32_e32 v2, v2, v9
	v_sub_u32_e32 v3, 0, v2
	v_max_i32_e32 v3, v2, v3
	v_mul_hi_u32 v8, v3, v5
	v_ashrrev_i32_e32 v10, 31, v2
	v_xor_b32_e32 v10, s85, v10
	v_add_u32_e32 v18, s17, v2
	v_mul_lo_u32 v9, v8, s33
	v_add_u32_e32 v11, 1, v8
	v_sub_u32_e32 v3, v3, v9
	v_cmp_le_u32_e32 vcc, s33, v3
	v_subrev_u32_e32 v9, s33, v3
	v_cndmask_b32_e32 v8, v8, v11, vcc
	v_cndmask_b32_e32 v3, v3, v9, vcc
	v_add_u32_e32 v9, 1, v8
	v_cmp_le_u32_e32 vcc, s33, v3
	v_cndmask_b32_e32 v3, v8, v9, vcc
	v_xor_b32_e32 v3, v3, v10
	v_sub_u32_e32 v8, v3, v10
	v_sub_u32_e32 v3, 0, v8
	v_max_i32_e32 v3, v8, v3
	v_mul_hi_u32 v9, v3, v6
	v_mul_lo_u32 v15, v8, s13
	v_mul_lo_u32 v10, v9, s82
	v_add_u32_e32 v11, 1, v9
	v_sub_u32_e32 v20, v18, v15
	v_add_u32_e32 v15, s19, v15
	v_sub_u32_e32 v3, v3, v10
	v_cmp_le_u32_e32 vcc, s82, v3
	v_subrev_u32_e32 v10, s82, v3
	v_cndmask_b32_e32 v9, v9, v11, vcc
	v_cndmask_b32_e32 v3, v3, v10, vcc
	v_add_u32_e32 v10, 1, v9
	v_cmp_le_u32_e32 vcc, s82, v3
	v_cndmask_b32_e32 v9, v9, v10, vcc
	v_mul_lo_u32 v10, v2, s12
	v_ashrrev_i32_e32 v3, 1, v20
	v_sub_u32_e32 v23, v18, v15
	v_cmp_gt_i32_e32 vcc, s15, v3
	v_sub_u32_e32 v12, v16, v10
	v_add_u32_e32 v10, s18, v10
	v_ashrrev_i32_e32 v2, 1, v12
	v_sub_u32_e32 v13, v16, v10
	v_add_u32_e32 v10, s18, v10
	v_cmp_lt_i32_e64 s[2:3], -1, v2
	v_cmp_gt_i32_e64 s[4:5], s14, v2
	v_ashrrev_i32_e32 v31, 1, v13
	v_sub_u32_e32 v14, v16, v10
	v_add_u32_e32 v10, s18, v10
	s_and_b64 s[38:39], s[2:3], s[4:5]
	v_cmp_lt_i32_e64 s[2:3], -1, v31
	v_cmp_gt_i32_e64 s[4:5], s14, v31
	v_ashrrev_i32_e32 v30, 1, v14
	v_sub_u32_e32 v11, v16, v10
	v_add_u32_e32 v10, s18, v10
	s_and_b64 s[70:71], s[2:3], s[4:5]
	v_cmp_lt_i32_e64 s[2:3], -1, v30
	v_cmp_gt_i32_e64 s[4:5], s14, v30
	v_sub_u32_e32 v10, v16, v10
	v_ashrrev_i32_e32 v29, 1, v11
	s_and_b64 s[72:73], s[2:3], s[4:5]
	v_cmp_lt_i32_e64 s[2:3], -1, v29
	v_cmp_gt_i32_e64 s[4:5], s14, v29
	v_ashrrev_i32_e32 v28, 1, v10
	s_and_b64 s[74:75], s[2:3], s[4:5]
	v_cmp_lt_i32_e64 s[2:3], -1, v28
	v_cmp_gt_i32_e64 s[4:5], s14, v28
	v_add_u32_e32 v16, s19, v15
	s_and_b64 s[2:3], s[2:3], s[4:5]
	v_ashrrev_i32_e32 v17, 1, v23
	v_sub_u32_e32 v22, v18, v16
	v_add_u32_e32 v19, s19, v16
	s_and_b64 s[28:29], vcc, s[38:39]
	s_and_b64 s[30:31], vcc, s[70:71]
	;; [unrolled: 1-line block ×5, first 2 shown]
	v_cmp_gt_i32_e32 vcc, s15, v17
	v_ashrrev_i32_e32 v15, 1, v22
	v_sub_u32_e32 v21, v18, v19
	v_add_u32_e32 v19, s19, v19
	s_and_b64 s[80:81], vcc, s[38:39]
	s_and_b64 s[78:79], vcc, s[70:71]
	;; [unrolled: 1-line block ×5, first 2 shown]
	v_cmp_gt_i32_e32 vcc, s15, v15
	v_ashrrev_i32_e32 v16, 1, v21
	v_sub_u32_e32 v18, v18, v19
	s_and_b64 s[48:49], vcc, s[38:39]
	s_and_b64 s[50:51], vcc, s[70:71]
	s_and_b64 s[52:53], vcc, s[72:73]
	s_and_b64 s[54:55], vcc, s[74:75]
	s_and_b64 s[56:57], vcc, s[2:3]
	v_cmp_gt_i32_e32 vcc, s15, v16
	v_ashrrev_i32_e32 v19, 1, v18
	v_or_b32_e32 v24, v20, v12
	s_and_b64 s[58:59], vcc, s[38:39]
	s_and_b64 s[60:61], vcc, s[70:71]
	;; [unrolled: 1-line block ×5, first 2 shown]
	v_cmp_gt_i32_e32 vcc, s15, v19
	v_and_b32_e32 v24, 1, v24
	s_and_b64 s[68:69], vcc, s[38:39]
	s_and_b64 s[70:71], vcc, s[70:71]
	;; [unrolled: 1-line block ×5, first 2 shown]
	v_cmp_gt_i32_e32 vcc, 0, v3
	v_cmp_eq_u32_e64 s[2:3], 1, v24
	v_or_b32_e32 v24, v20, v13
	s_or_b64 s[2:3], s[2:3], vcc
	s_xor_b64 s[4:5], s[28:29], -1
	v_and_b32_e32 v24, 1, v24
	s_nor_b64 s[4:5], s[2:3], s[4:5]
	v_cmp_eq_u32_e64 s[2:3], 1, v24
	v_or_b32_e32 v24, v20, v14
	s_or_b64 s[2:3], s[2:3], vcc
	s_xor_b64 s[28:29], s[30:31], -1
	v_and_b32_e32 v24, 1, v24
	s_nor_b64 s[28:29], s[2:3], s[28:29]
	v_cmp_eq_u32_e64 s[2:3], 1, v24
	v_or_b32_e32 v24, v20, v11
	s_or_b64 s[2:3], s[2:3], vcc
	s_xor_b64 s[30:31], s[34:35], -1
	v_and_b32_e32 v24, 1, v24
	s_nor_b64 s[30:31], s[2:3], s[30:31]
	v_cmp_eq_u32_e64 s[2:3], 1, v24
	v_or_b32_e32 v20, v20, v10
	s_or_b64 s[2:3], s[2:3], vcc
	s_xor_b64 s[34:35], s[36:37], -1
	v_and_b32_e32 v20, 1, v20
	s_nor_b64 s[34:35], s[2:3], s[34:35]
	v_cmp_eq_u32_e64 s[2:3], 1, v20
	v_or_b32_e32 v20, v23, v12
	s_or_b64 s[2:3], s[2:3], vcc
	s_xor_b64 s[36:37], s[40:41], -1
	v_and_b32_e32 v20, 1, v20
	s_nor_b64 s[36:37], s[2:3], s[36:37]
	v_cmp_gt_i32_e32 vcc, 0, v17
	v_cmp_eq_u32_e64 s[2:3], 1, v20
	v_or_b32_e32 v20, v23, v13
	s_or_b64 s[2:3], s[2:3], vcc
	s_xor_b64 s[38:39], s[80:81], -1
	v_and_b32_e32 v20, 1, v20
	s_nor_b64 s[38:39], s[2:3], s[38:39]
	v_cmp_eq_u32_e64 s[2:3], 1, v20
	v_or_b32_e32 v20, v23, v14
	s_or_b64 s[2:3], s[2:3], vcc
	s_xor_b64 s[40:41], s[78:79], -1
	v_and_b32_e32 v20, 1, v20
	s_nor_b64 s[40:41], s[2:3], s[40:41]
	v_cmp_eq_u32_e64 s[2:3], 1, v20
	v_or_b32_e32 v20, v23, v11
	s_or_b64 s[2:3], s[2:3], vcc
	s_xor_b64 s[42:43], s[42:43], -1
	v_and_b32_e32 v20, 1, v20
	s_nor_b64 s[42:43], s[2:3], s[42:43]
	v_cmp_eq_u32_e64 s[2:3], 1, v20
	v_or_b32_e32 v20, v23, v10
	s_or_b64 s[2:3], s[2:3], vcc
	s_xor_b64 s[44:45], s[44:45], -1
	v_and_b32_e32 v20, 1, v20
	s_nor_b64 s[44:45], s[2:3], s[44:45]
	v_cmp_eq_u32_e64 s[2:3], 1, v20
	v_or_b32_e32 v20, v22, v12
	s_or_b64 s[2:3], s[2:3], vcc
	s_xor_b64 s[46:47], s[46:47], -1
	v_and_b32_e32 v20, 1, v20
	s_nor_b64 s[46:47], s[2:3], s[46:47]
	;; [unrolled: 31-line block ×4, first 2 shown]
	v_cmp_gt_i32_e32 vcc, 0, v19
	v_cmp_eq_u32_e64 s[2:3], 1, v12
	v_or_b32_e32 v12, v18, v13
	s_or_b64 s[2:3], s[2:3], vcc
	s_xor_b64 s[68:69], s[68:69], -1
	v_and_b32_e32 v12, 1, v12
	s_nor_b64 s[68:69], s[2:3], s[68:69]
	v_cmp_eq_u32_e64 s[2:3], 1, v12
	v_or_b32_e32 v12, v18, v14
	s_or_b64 s[2:3], s[2:3], vcc
	s_xor_b64 s[70:71], s[70:71], -1
	v_and_b32_e32 v12, 1, v12
	s_nor_b64 s[70:71], s[2:3], s[70:71]
	v_cmp_eq_u32_e64 s[2:3], 1, v12
	v_ashrrev_i32_e32 v12, 31, v8
	v_xor_b32_e32 v12, s86, v12
	v_xor_b32_e32 v9, v9, v12
	v_sub_u32_e32 v9, v9, v12
	v_mul_lo_u32 v12, v9, s9
	v_mul_lo_u32 v9, v9, s11
	s_or_b64 s[2:3], s[2:3], vcc
	s_xor_b64 s[72:73], s[72:73], -1
	v_sub_u32_e32 v32, v8, v12
	s_nor_b64 s[72:73], s[2:3], s[72:73]
	v_mad_u64_u32 v[8:9], s[2:3], v32, s10, v[9:10]
	v_or_b32_e32 v11, v18, v11
	v_and_b32_e32 v9, 1, v11
	v_mul_lo_u32 v23, s15, v8
	v_cmp_eq_u32_e64 s[2:3], 1, v9
	v_or_b32_e32 v8, v18, v10
	s_or_b64 s[2:3], s[2:3], vcc
	v_add_u32_e32 v9, v19, v23
	v_mul_lo_u32 v24, s14, v9
	v_add_u32_e32 v9, v16, v23
	v_add_u32_e32 v13, v15, v23
	;; [unrolled: 1-line block ×4, first 2 shown]
	v_mul_lo_u32 v25, s14, v9
	v_mul_lo_u32 v26, s14, v13
	;; [unrolled: 1-line block ×4, first 2 shown]
	s_xor_b64 s[74:75], s[74:75], -1
	v_and_b32_e32 v8, 1, v8
	s_nor_b64 s[74:75], s[2:3], s[74:75]
	v_cmp_eq_u32_e64 s[2:3], 1, v8
	v_add_u32_e32 v8, v28, v24
	v_add_u32_e32 v9, v29, v24
	;; [unrolled: 1-line block ×21, first 2 shown]
	v_mul_lo_u32 v2, s88, v32
	s_or_b64 s[2:3], s[2:3], vcc
	s_xor_b64 s[76:77], s[76:77], -1
	v_add_u32_e32 v28, v28, v3
	v_add_u32_e32 v29, v29, v3
	;; [unrolled: 1-line block ×4, first 2 shown]
	s_nor_b64 s[2:3], s[2:3], s[76:77]
	s_mov_b32 s78, 0
	s_mov_b32 s79, s10
	v_mov_b32_e32 v32, 0
	s_branch .LBB53_7
.LBB53_6:                               ;   in Loop: Header=BB53_7 Depth=2
	s_or_b64 exec, exec, s[76:77]
	s_add_i32 s79, s79, -1
	s_add_i32 s78, s78, s89
	s_cmp_eq_u32 s79, 0
	v_add_u32_e32 v2, s87, v2
	s_cbranch_scc1 .LBB53_3
.LBB53_7:                               ;   Parent Loop BB53_4 Depth=1
                                        ; =>  This Inner Loop Header: Depth=2
	v_ashrrev_i32_e32 v3, 31, v2
	s_and_saveexec_b64 s[76:77], s[4:5]
	s_cbranch_execnz .LBB53_32
; %bb.8:                                ;   in Loop: Header=BB53_7 Depth=2
	s_or_b64 exec, exec, s[76:77]
	s_and_saveexec_b64 s[76:77], s[28:29]
	s_cbranch_execnz .LBB53_33
.LBB53_9:                               ;   in Loop: Header=BB53_7 Depth=2
	s_or_b64 exec, exec, s[76:77]
	s_and_saveexec_b64 s[76:77], s[30:31]
	s_cbranch_execnz .LBB53_34
.LBB53_10:                              ;   in Loop: Header=BB53_7 Depth=2
	s_or_b64 exec, exec, s[76:77]
	s_and_saveexec_b64 s[76:77], s[34:35]
	s_cbranch_execnz .LBB53_35
.LBB53_11:                              ;   in Loop: Header=BB53_7 Depth=2
	s_or_b64 exec, exec, s[76:77]
	s_and_saveexec_b64 s[76:77], s[36:37]
	s_cbranch_execnz .LBB53_36
.LBB53_12:                              ;   in Loop: Header=BB53_7 Depth=2
	s_or_b64 exec, exec, s[76:77]
	s_and_saveexec_b64 s[76:77], s[38:39]
	s_cbranch_execnz .LBB53_37
.LBB53_13:                              ;   in Loop: Header=BB53_7 Depth=2
	s_or_b64 exec, exec, s[76:77]
	s_and_saveexec_b64 s[76:77], s[40:41]
	s_cbranch_execnz .LBB53_38
.LBB53_14:                              ;   in Loop: Header=BB53_7 Depth=2
	s_or_b64 exec, exec, s[76:77]
	s_and_saveexec_b64 s[76:77], s[42:43]
	s_cbranch_execnz .LBB53_39
.LBB53_15:                              ;   in Loop: Header=BB53_7 Depth=2
	s_or_b64 exec, exec, s[76:77]
	s_and_saveexec_b64 s[76:77], s[44:45]
	s_cbranch_execnz .LBB53_40
.LBB53_16:                              ;   in Loop: Header=BB53_7 Depth=2
	s_or_b64 exec, exec, s[76:77]
	s_and_saveexec_b64 s[76:77], s[46:47]
	s_cbranch_execnz .LBB53_41
.LBB53_17:                              ;   in Loop: Header=BB53_7 Depth=2
	s_or_b64 exec, exec, s[76:77]
	s_and_saveexec_b64 s[76:77], s[48:49]
	s_cbranch_execnz .LBB53_42
.LBB53_18:                              ;   in Loop: Header=BB53_7 Depth=2
	s_or_b64 exec, exec, s[76:77]
	s_and_saveexec_b64 s[76:77], s[50:51]
	s_cbranch_execnz .LBB53_43
.LBB53_19:                              ;   in Loop: Header=BB53_7 Depth=2
	s_or_b64 exec, exec, s[76:77]
	s_and_saveexec_b64 s[76:77], s[52:53]
	s_cbranch_execnz .LBB53_44
.LBB53_20:                              ;   in Loop: Header=BB53_7 Depth=2
	s_or_b64 exec, exec, s[76:77]
	s_and_saveexec_b64 s[76:77], s[54:55]
	s_cbranch_execnz .LBB53_45
.LBB53_21:                              ;   in Loop: Header=BB53_7 Depth=2
	s_or_b64 exec, exec, s[76:77]
	s_and_saveexec_b64 s[76:77], s[56:57]
	s_cbranch_execnz .LBB53_46
.LBB53_22:                              ;   in Loop: Header=BB53_7 Depth=2
	s_or_b64 exec, exec, s[76:77]
	s_and_saveexec_b64 s[76:77], s[58:59]
	s_cbranch_execnz .LBB53_47
.LBB53_23:                              ;   in Loop: Header=BB53_7 Depth=2
	s_or_b64 exec, exec, s[76:77]
	s_and_saveexec_b64 s[76:77], s[60:61]
	s_cbranch_execnz .LBB53_48
.LBB53_24:                              ;   in Loop: Header=BB53_7 Depth=2
	s_or_b64 exec, exec, s[76:77]
	s_and_saveexec_b64 s[76:77], s[62:63]
	s_cbranch_execnz .LBB53_49
.LBB53_25:                              ;   in Loop: Header=BB53_7 Depth=2
	s_or_b64 exec, exec, s[76:77]
	s_and_saveexec_b64 s[76:77], s[64:65]
	s_cbranch_execnz .LBB53_50
.LBB53_26:                              ;   in Loop: Header=BB53_7 Depth=2
	s_or_b64 exec, exec, s[76:77]
	s_and_saveexec_b64 s[76:77], s[66:67]
	s_cbranch_execnz .LBB53_51
.LBB53_27:                              ;   in Loop: Header=BB53_7 Depth=2
	s_or_b64 exec, exec, s[76:77]
	s_and_saveexec_b64 s[76:77], s[68:69]
	s_cbranch_execnz .LBB53_52
.LBB53_28:                              ;   in Loop: Header=BB53_7 Depth=2
	s_or_b64 exec, exec, s[76:77]
	s_and_saveexec_b64 s[76:77], s[70:71]
	s_cbranch_execnz .LBB53_53
.LBB53_29:                              ;   in Loop: Header=BB53_7 Depth=2
	s_or_b64 exec, exec, s[76:77]
	s_and_saveexec_b64 s[76:77], s[72:73]
	s_cbranch_execnz .LBB53_54
.LBB53_30:                              ;   in Loop: Header=BB53_7 Depth=2
	s_or_b64 exec, exec, s[76:77]
	s_and_saveexec_b64 s[76:77], s[74:75]
	s_cbranch_execnz .LBB53_55
.LBB53_31:                              ;   in Loop: Header=BB53_7 Depth=2
	s_or_b64 exec, exec, s[76:77]
	s_and_saveexec_b64 s[76:77], s[2:3]
	s_cbranch_execz .LBB53_6
	s_branch .LBB53_56
.LBB53_32:                              ;   in Loop: Header=BB53_7 Depth=2
	v_lshlrev_b64 v[35:36], 1, v[2:3]
	v_add_u32_e32 v34, s78, v33
	v_add_co_u32_e32 v37, vcc, s24, v35
	v_ashrrev_i32_e32 v35, 31, v34
	v_mov_b32_e32 v38, s25
	v_lshlrev_b64 v[34:35], 1, v[34:35]
	v_addc_co_u32_e32 v38, vcc, v38, v36, vcc
	v_mov_b32_e32 v36, s21
	v_add_co_u32_e32 v34, vcc, s20, v34
	v_addc_co_u32_e32 v35, vcc, v36, v35, vcc
	global_load_ushort v34, v[34:35], off
	s_nop 0
	global_load_ushort v35, v[37:38], off
	s_waitcnt vmcnt(1)
	v_lshlrev_b32_e32 v34, 16, v34
	s_waitcnt vmcnt(0)
	v_lshlrev_b32_e32 v35, 16, v35
	v_fmac_f32_e32 v32, v35, v34
	s_or_b64 exec, exec, s[76:77]
	s_and_saveexec_b64 s[76:77], s[28:29]
	s_cbranch_execz .LBB53_9
.LBB53_33:                              ;   in Loop: Header=BB53_7 Depth=2
	v_lshlrev_b64 v[35:36], 1, v[2:3]
	v_add_u32_e32 v34, s78, v31
	v_add_co_u32_e32 v37, vcc, s24, v35
	v_ashrrev_i32_e32 v35, 31, v34
	v_mov_b32_e32 v38, s25
	v_lshlrev_b64 v[34:35], 1, v[34:35]
	v_addc_co_u32_e32 v38, vcc, v38, v36, vcc
	v_mov_b32_e32 v36, s21
	v_add_co_u32_e32 v34, vcc, s20, v34
	v_addc_co_u32_e32 v35, vcc, v36, v35, vcc
	global_load_ushort v34, v[34:35], off
	s_nop 0
	global_load_ushort v35, v[37:38], off offset:2
	s_waitcnt vmcnt(1)
	v_lshlrev_b32_e32 v34, 16, v34
	s_waitcnt vmcnt(0)
	v_lshlrev_b32_e32 v35, 16, v35
	v_fmac_f32_e32 v32, v35, v34
	s_or_b64 exec, exec, s[76:77]
	s_and_saveexec_b64 s[76:77], s[30:31]
	s_cbranch_execz .LBB53_10
.LBB53_34:                              ;   in Loop: Header=BB53_7 Depth=2
	v_lshlrev_b64 v[35:36], 1, v[2:3]
	v_add_u32_e32 v34, s78, v30
	v_add_co_u32_e32 v37, vcc, s24, v35
	v_ashrrev_i32_e32 v35, 31, v34
	v_mov_b32_e32 v38, s25
	v_lshlrev_b64 v[34:35], 1, v[34:35]
	v_addc_co_u32_e32 v38, vcc, v38, v36, vcc
	v_mov_b32_e32 v36, s21
	v_add_co_u32_e32 v34, vcc, s20, v34
	v_addc_co_u32_e32 v35, vcc, v36, v35, vcc
	global_load_ushort v34, v[34:35], off
	s_nop 0
	global_load_ushort v35, v[37:38], off offset:4
	s_waitcnt vmcnt(1)
	v_lshlrev_b32_e32 v34, 16, v34
	s_waitcnt vmcnt(0)
	v_lshlrev_b32_e32 v35, 16, v35
	v_fmac_f32_e32 v32, v35, v34
	s_or_b64 exec, exec, s[76:77]
	s_and_saveexec_b64 s[76:77], s[34:35]
	s_cbranch_execz .LBB53_11
.LBB53_35:                              ;   in Loop: Header=BB53_7 Depth=2
	v_lshlrev_b64 v[35:36], 1, v[2:3]
	v_add_u32_e32 v34, s78, v29
	v_add_co_u32_e32 v37, vcc, s24, v35
	v_ashrrev_i32_e32 v35, 31, v34
	v_mov_b32_e32 v38, s25
	v_lshlrev_b64 v[34:35], 1, v[34:35]
	v_addc_co_u32_e32 v38, vcc, v38, v36, vcc
	v_mov_b32_e32 v36, s21
	v_add_co_u32_e32 v34, vcc, s20, v34
	v_addc_co_u32_e32 v35, vcc, v36, v35, vcc
	global_load_ushort v34, v[34:35], off
	s_nop 0
	global_load_ushort v35, v[37:38], off offset:6
	s_waitcnt vmcnt(1)
	v_lshlrev_b32_e32 v34, 16, v34
	s_waitcnt vmcnt(0)
	v_lshlrev_b32_e32 v35, 16, v35
	v_fmac_f32_e32 v32, v35, v34
	s_or_b64 exec, exec, s[76:77]
	s_and_saveexec_b64 s[76:77], s[36:37]
	s_cbranch_execz .LBB53_12
.LBB53_36:                              ;   in Loop: Header=BB53_7 Depth=2
	v_lshlrev_b64 v[35:36], 1, v[2:3]
	v_add_u32_e32 v34, s78, v28
	v_add_co_u32_e32 v37, vcc, s24, v35
	v_ashrrev_i32_e32 v35, 31, v34
	v_mov_b32_e32 v38, s25
	v_lshlrev_b64 v[34:35], 1, v[34:35]
	v_addc_co_u32_e32 v38, vcc, v38, v36, vcc
	v_mov_b32_e32 v36, s21
	v_add_co_u32_e32 v34, vcc, s20, v34
	v_addc_co_u32_e32 v35, vcc, v36, v35, vcc
	global_load_ushort v34, v[34:35], off
	s_nop 0
	global_load_ushort v35, v[37:38], off offset:8
	s_waitcnt vmcnt(1)
	v_lshlrev_b32_e32 v34, 16, v34
	s_waitcnt vmcnt(0)
	v_lshlrev_b32_e32 v35, 16, v35
	v_fmac_f32_e32 v32, v35, v34
	s_or_b64 exec, exec, s[76:77]
	s_and_saveexec_b64 s[76:77], s[38:39]
	s_cbranch_execz .LBB53_13
.LBB53_37:                              ;   in Loop: Header=BB53_7 Depth=2
	v_lshlrev_b64 v[35:36], 1, v[2:3]
	v_add_u32_e32 v34, s78, v27
	v_add_co_u32_e32 v37, vcc, s24, v35
	v_ashrrev_i32_e32 v35, 31, v34
	v_mov_b32_e32 v38, s25
	v_lshlrev_b64 v[34:35], 1, v[34:35]
	v_addc_co_u32_e32 v38, vcc, v38, v36, vcc
	v_mov_b32_e32 v36, s21
	v_add_co_u32_e32 v34, vcc, s20, v34
	v_addc_co_u32_e32 v35, vcc, v36, v35, vcc
	global_load_ushort v34, v[34:35], off
	s_nop 0
	global_load_ushort v35, v[37:38], off offset:10
	s_waitcnt vmcnt(1)
	v_lshlrev_b32_e32 v34, 16, v34
	s_waitcnt vmcnt(0)
	v_lshlrev_b32_e32 v35, 16, v35
	v_fmac_f32_e32 v32, v35, v34
	s_or_b64 exec, exec, s[76:77]
	s_and_saveexec_b64 s[76:77], s[40:41]
	s_cbranch_execz .LBB53_14
.LBB53_38:                              ;   in Loop: Header=BB53_7 Depth=2
	v_lshlrev_b64 v[35:36], 1, v[2:3]
	v_add_u32_e32 v34, s78, v26
	v_add_co_u32_e32 v37, vcc, s24, v35
	v_ashrrev_i32_e32 v35, 31, v34
	v_mov_b32_e32 v38, s25
	v_lshlrev_b64 v[34:35], 1, v[34:35]
	v_addc_co_u32_e32 v38, vcc, v38, v36, vcc
	v_mov_b32_e32 v36, s21
	v_add_co_u32_e32 v34, vcc, s20, v34
	v_addc_co_u32_e32 v35, vcc, v36, v35, vcc
	global_load_ushort v34, v[34:35], off
	s_nop 0
	global_load_ushort v35, v[37:38], off offset:12
	s_waitcnt vmcnt(1)
	v_lshlrev_b32_e32 v34, 16, v34
	s_waitcnt vmcnt(0)
	v_lshlrev_b32_e32 v35, 16, v35
	v_fmac_f32_e32 v32, v35, v34
	s_or_b64 exec, exec, s[76:77]
	s_and_saveexec_b64 s[76:77], s[42:43]
	s_cbranch_execz .LBB53_15
.LBB53_39:                              ;   in Loop: Header=BB53_7 Depth=2
	v_lshlrev_b64 v[35:36], 1, v[2:3]
	v_add_u32_e32 v34, s78, v22
	v_add_co_u32_e32 v37, vcc, s24, v35
	v_ashrrev_i32_e32 v35, 31, v34
	v_mov_b32_e32 v38, s25
	v_lshlrev_b64 v[34:35], 1, v[34:35]
	v_addc_co_u32_e32 v38, vcc, v38, v36, vcc
	v_mov_b32_e32 v36, s21
	v_add_co_u32_e32 v34, vcc, s20, v34
	v_addc_co_u32_e32 v35, vcc, v36, v35, vcc
	global_load_ushort v34, v[34:35], off
	s_nop 0
	global_load_ushort v35, v[37:38], off offset:14
	s_waitcnt vmcnt(1)
	v_lshlrev_b32_e32 v34, 16, v34
	s_waitcnt vmcnt(0)
	v_lshlrev_b32_e32 v35, 16, v35
	v_fmac_f32_e32 v32, v35, v34
	s_or_b64 exec, exec, s[76:77]
	s_and_saveexec_b64 s[76:77], s[44:45]
	s_cbranch_execz .LBB53_16
.LBB53_40:                              ;   in Loop: Header=BB53_7 Depth=2
	v_lshlrev_b64 v[35:36], 1, v[2:3]
	v_add_u32_e32 v34, s78, v21
	v_add_co_u32_e32 v37, vcc, s24, v35
	v_ashrrev_i32_e32 v35, 31, v34
	v_mov_b32_e32 v38, s25
	v_lshlrev_b64 v[34:35], 1, v[34:35]
	v_addc_co_u32_e32 v38, vcc, v38, v36, vcc
	v_mov_b32_e32 v36, s21
	v_add_co_u32_e32 v34, vcc, s20, v34
	v_addc_co_u32_e32 v35, vcc, v36, v35, vcc
	global_load_ushort v34, v[34:35], off
	s_nop 0
	global_load_ushort v35, v[37:38], off offset:16
	s_waitcnt vmcnt(1)
	v_lshlrev_b32_e32 v34, 16, v34
	s_waitcnt vmcnt(0)
	v_lshlrev_b32_e32 v35, 16, v35
	v_fmac_f32_e32 v32, v35, v34
	s_or_b64 exec, exec, s[76:77]
	s_and_saveexec_b64 s[76:77], s[46:47]
	s_cbranch_execz .LBB53_17
.LBB53_41:                              ;   in Loop: Header=BB53_7 Depth=2
	v_lshlrev_b64 v[35:36], 1, v[2:3]
	v_add_u32_e32 v34, s78, v20
	v_add_co_u32_e32 v37, vcc, s24, v35
	v_ashrrev_i32_e32 v35, 31, v34
	v_mov_b32_e32 v38, s25
	v_lshlrev_b64 v[34:35], 1, v[34:35]
	v_addc_co_u32_e32 v38, vcc, v38, v36, vcc
	v_mov_b32_e32 v36, s21
	v_add_co_u32_e32 v34, vcc, s20, v34
	v_addc_co_u32_e32 v35, vcc, v36, v35, vcc
	global_load_ushort v34, v[34:35], off
	s_nop 0
	global_load_ushort v35, v[37:38], off offset:18
	s_waitcnt vmcnt(1)
	v_lshlrev_b32_e32 v34, 16, v34
	s_waitcnt vmcnt(0)
	v_lshlrev_b32_e32 v35, 16, v35
	v_fmac_f32_e32 v32, v35, v34
	s_or_b64 exec, exec, s[76:77]
	s_and_saveexec_b64 s[76:77], s[48:49]
	s_cbranch_execz .LBB53_18
.LBB53_42:                              ;   in Loop: Header=BB53_7 Depth=2
	v_lshlrev_b64 v[35:36], 1, v[2:3]
	v_add_u32_e32 v34, s78, v25
	v_add_co_u32_e32 v37, vcc, s24, v35
	v_ashrrev_i32_e32 v35, 31, v34
	v_mov_b32_e32 v38, s25
	v_lshlrev_b64 v[34:35], 1, v[34:35]
	v_addc_co_u32_e32 v38, vcc, v38, v36, vcc
	v_mov_b32_e32 v36, s21
	v_add_co_u32_e32 v34, vcc, s20, v34
	v_addc_co_u32_e32 v35, vcc, v36, v35, vcc
	global_load_ushort v34, v[34:35], off
	s_nop 0
	global_load_ushort v35, v[37:38], off offset:20
	s_waitcnt vmcnt(1)
	v_lshlrev_b32_e32 v34, 16, v34
	s_waitcnt vmcnt(0)
	v_lshlrev_b32_e32 v35, 16, v35
	v_fmac_f32_e32 v32, v35, v34
	s_or_b64 exec, exec, s[76:77]
	s_and_saveexec_b64 s[76:77], s[50:51]
	s_cbranch_execz .LBB53_19
.LBB53_43:                              ;   in Loop: Header=BB53_7 Depth=2
	v_lshlrev_b64 v[35:36], 1, v[2:3]
	v_add_u32_e32 v34, s78, v19
	v_add_co_u32_e32 v37, vcc, s24, v35
	v_ashrrev_i32_e32 v35, 31, v34
	v_mov_b32_e32 v38, s25
	v_lshlrev_b64 v[34:35], 1, v[34:35]
	v_addc_co_u32_e32 v38, vcc, v38, v36, vcc
	v_mov_b32_e32 v36, s21
	v_add_co_u32_e32 v34, vcc, s20, v34
	v_addc_co_u32_e32 v35, vcc, v36, v35, vcc
	global_load_ushort v34, v[34:35], off
	s_nop 0
	global_load_ushort v35, v[37:38], off offset:22
	s_waitcnt vmcnt(1)
	v_lshlrev_b32_e32 v34, 16, v34
	s_waitcnt vmcnt(0)
	v_lshlrev_b32_e32 v35, 16, v35
	v_fmac_f32_e32 v32, v35, v34
	s_or_b64 exec, exec, s[76:77]
	s_and_saveexec_b64 s[76:77], s[52:53]
	s_cbranch_execz .LBB53_20
.LBB53_44:                              ;   in Loop: Header=BB53_7 Depth=2
	v_lshlrev_b64 v[35:36], 1, v[2:3]
	v_add_u32_e32 v34, s78, v18
	v_add_co_u32_e32 v37, vcc, s24, v35
	v_ashrrev_i32_e32 v35, 31, v34
	v_mov_b32_e32 v38, s25
	v_lshlrev_b64 v[34:35], 1, v[34:35]
	v_addc_co_u32_e32 v38, vcc, v38, v36, vcc
	v_mov_b32_e32 v36, s21
	v_add_co_u32_e32 v34, vcc, s20, v34
	v_addc_co_u32_e32 v35, vcc, v36, v35, vcc
	global_load_ushort v34, v[34:35], off
	s_nop 0
	global_load_ushort v35, v[37:38], off offset:24
	s_waitcnt vmcnt(1)
	v_lshlrev_b32_e32 v34, 16, v34
	s_waitcnt vmcnt(0)
	v_lshlrev_b32_e32 v35, 16, v35
	v_fmac_f32_e32 v32, v35, v34
	s_or_b64 exec, exec, s[76:77]
	s_and_saveexec_b64 s[76:77], s[54:55]
	s_cbranch_execz .LBB53_21
.LBB53_45:                              ;   in Loop: Header=BB53_7 Depth=2
	v_lshlrev_b64 v[35:36], 1, v[2:3]
	v_add_u32_e32 v34, s78, v17
	v_add_co_u32_e32 v37, vcc, s24, v35
	v_ashrrev_i32_e32 v35, 31, v34
	v_mov_b32_e32 v38, s25
	v_lshlrev_b64 v[34:35], 1, v[34:35]
	v_addc_co_u32_e32 v38, vcc, v38, v36, vcc
	v_mov_b32_e32 v36, s21
	v_add_co_u32_e32 v34, vcc, s20, v34
	v_addc_co_u32_e32 v35, vcc, v36, v35, vcc
	global_load_ushort v34, v[34:35], off
	s_nop 0
	global_load_ushort v35, v[37:38], off offset:26
	s_waitcnt vmcnt(1)
	v_lshlrev_b32_e32 v34, 16, v34
	s_waitcnt vmcnt(0)
	v_lshlrev_b32_e32 v35, 16, v35
	v_fmac_f32_e32 v32, v35, v34
	s_or_b64 exec, exec, s[76:77]
	s_and_saveexec_b64 s[76:77], s[56:57]
	s_cbranch_execz .LBB53_22
.LBB53_46:                              ;   in Loop: Header=BB53_7 Depth=2
	v_lshlrev_b64 v[35:36], 1, v[2:3]
	v_add_u32_e32 v34, s78, v16
	v_add_co_u32_e32 v37, vcc, s24, v35
	v_ashrrev_i32_e32 v35, 31, v34
	v_mov_b32_e32 v38, s25
	v_lshlrev_b64 v[34:35], 1, v[34:35]
	v_addc_co_u32_e32 v38, vcc, v38, v36, vcc
	v_mov_b32_e32 v36, s21
	v_add_co_u32_e32 v34, vcc, s20, v34
	v_addc_co_u32_e32 v35, vcc, v36, v35, vcc
	global_load_ushort v34, v[34:35], off
	s_nop 0
	global_load_ushort v35, v[37:38], off offset:28
	s_waitcnt vmcnt(1)
	v_lshlrev_b32_e32 v34, 16, v34
	s_waitcnt vmcnt(0)
	v_lshlrev_b32_e32 v35, 16, v35
	v_fmac_f32_e32 v32, v35, v34
	s_or_b64 exec, exec, s[76:77]
	s_and_saveexec_b64 s[76:77], s[58:59]
	s_cbranch_execz .LBB53_23
.LBB53_47:                              ;   in Loop: Header=BB53_7 Depth=2
	v_lshlrev_b64 v[35:36], 1, v[2:3]
	v_add_u32_e32 v34, s78, v24
	v_add_co_u32_e32 v37, vcc, s24, v35
	v_ashrrev_i32_e32 v35, 31, v34
	v_mov_b32_e32 v38, s25
	v_lshlrev_b64 v[34:35], 1, v[34:35]
	v_addc_co_u32_e32 v38, vcc, v38, v36, vcc
	v_mov_b32_e32 v36, s21
	v_add_co_u32_e32 v34, vcc, s20, v34
	v_addc_co_u32_e32 v35, vcc, v36, v35, vcc
	global_load_ushort v34, v[34:35], off
	s_nop 0
	global_load_ushort v35, v[37:38], off offset:30
	s_waitcnt vmcnt(1)
	v_lshlrev_b32_e32 v34, 16, v34
	s_waitcnt vmcnt(0)
	v_lshlrev_b32_e32 v35, 16, v35
	v_fmac_f32_e32 v32, v35, v34
	s_or_b64 exec, exec, s[76:77]
	s_and_saveexec_b64 s[76:77], s[60:61]
	s_cbranch_execz .LBB53_24
.LBB53_48:                              ;   in Loop: Header=BB53_7 Depth=2
	v_lshlrev_b64 v[35:36], 1, v[2:3]
	v_add_u32_e32 v34, s78, v15
	v_add_co_u32_e32 v37, vcc, s24, v35
	v_ashrrev_i32_e32 v35, 31, v34
	v_mov_b32_e32 v38, s25
	v_lshlrev_b64 v[34:35], 1, v[34:35]
	v_addc_co_u32_e32 v38, vcc, v38, v36, vcc
	v_mov_b32_e32 v36, s21
	v_add_co_u32_e32 v34, vcc, s20, v34
	v_addc_co_u32_e32 v35, vcc, v36, v35, vcc
	global_load_ushort v34, v[34:35], off
	s_nop 0
	global_load_ushort v35, v[37:38], off offset:32
	s_waitcnt vmcnt(1)
	v_lshlrev_b32_e32 v34, 16, v34
	s_waitcnt vmcnt(0)
	v_lshlrev_b32_e32 v35, 16, v35
	v_fmac_f32_e32 v32, v35, v34
	s_or_b64 exec, exec, s[76:77]
	s_and_saveexec_b64 s[76:77], s[62:63]
	s_cbranch_execz .LBB53_25
.LBB53_49:                              ;   in Loop: Header=BB53_7 Depth=2
	v_lshlrev_b64 v[35:36], 1, v[2:3]
	v_add_u32_e32 v34, s78, v14
	v_add_co_u32_e32 v37, vcc, s24, v35
	v_ashrrev_i32_e32 v35, 31, v34
	v_mov_b32_e32 v38, s25
	v_lshlrev_b64 v[34:35], 1, v[34:35]
	v_addc_co_u32_e32 v38, vcc, v38, v36, vcc
	v_mov_b32_e32 v36, s21
	v_add_co_u32_e32 v34, vcc, s20, v34
	v_addc_co_u32_e32 v35, vcc, v36, v35, vcc
	global_load_ushort v34, v[34:35], off
	s_nop 0
	global_load_ushort v35, v[37:38], off offset:34
	s_waitcnt vmcnt(1)
	v_lshlrev_b32_e32 v34, 16, v34
	s_waitcnt vmcnt(0)
	v_lshlrev_b32_e32 v35, 16, v35
	v_fmac_f32_e32 v32, v35, v34
	s_or_b64 exec, exec, s[76:77]
	s_and_saveexec_b64 s[76:77], s[64:65]
	s_cbranch_execz .LBB53_26
.LBB53_50:                              ;   in Loop: Header=BB53_7 Depth=2
	v_lshlrev_b64 v[35:36], 1, v[2:3]
	v_add_u32_e32 v34, s78, v13
	v_add_co_u32_e32 v37, vcc, s24, v35
	v_ashrrev_i32_e32 v35, 31, v34
	v_mov_b32_e32 v38, s25
	v_lshlrev_b64 v[34:35], 1, v[34:35]
	v_addc_co_u32_e32 v38, vcc, v38, v36, vcc
	v_mov_b32_e32 v36, s21
	v_add_co_u32_e32 v34, vcc, s20, v34
	v_addc_co_u32_e32 v35, vcc, v36, v35, vcc
	global_load_ushort v34, v[34:35], off
	s_nop 0
	global_load_ushort v35, v[37:38], off offset:36
	s_waitcnt vmcnt(1)
	v_lshlrev_b32_e32 v34, 16, v34
	s_waitcnt vmcnt(0)
	v_lshlrev_b32_e32 v35, 16, v35
	v_fmac_f32_e32 v32, v35, v34
	s_or_b64 exec, exec, s[76:77]
	s_and_saveexec_b64 s[76:77], s[66:67]
	s_cbranch_execz .LBB53_27
.LBB53_51:                              ;   in Loop: Header=BB53_7 Depth=2
	v_lshlrev_b64 v[35:36], 1, v[2:3]
	v_add_u32_e32 v34, s78, v12
	v_add_co_u32_e32 v37, vcc, s24, v35
	v_ashrrev_i32_e32 v35, 31, v34
	v_mov_b32_e32 v38, s25
	v_lshlrev_b64 v[34:35], 1, v[34:35]
	v_addc_co_u32_e32 v38, vcc, v38, v36, vcc
	v_mov_b32_e32 v36, s21
	v_add_co_u32_e32 v34, vcc, s20, v34
	v_addc_co_u32_e32 v35, vcc, v36, v35, vcc
	global_load_ushort v34, v[34:35], off
	s_nop 0
	global_load_ushort v35, v[37:38], off offset:38
	s_waitcnt vmcnt(1)
	v_lshlrev_b32_e32 v34, 16, v34
	s_waitcnt vmcnt(0)
	v_lshlrev_b32_e32 v35, 16, v35
	v_fmac_f32_e32 v32, v35, v34
	s_or_b64 exec, exec, s[76:77]
	s_and_saveexec_b64 s[76:77], s[68:69]
	s_cbranch_execz .LBB53_28
.LBB53_52:                              ;   in Loop: Header=BB53_7 Depth=2
	v_lshlrev_b64 v[35:36], 1, v[2:3]
	v_add_u32_e32 v34, s78, v23
	v_add_co_u32_e32 v37, vcc, s24, v35
	v_ashrrev_i32_e32 v35, 31, v34
	v_mov_b32_e32 v38, s25
	v_lshlrev_b64 v[34:35], 1, v[34:35]
	v_addc_co_u32_e32 v38, vcc, v38, v36, vcc
	v_mov_b32_e32 v36, s21
	v_add_co_u32_e32 v34, vcc, s20, v34
	v_addc_co_u32_e32 v35, vcc, v36, v35, vcc
	global_load_ushort v34, v[34:35], off
	s_nop 0
	global_load_ushort v35, v[37:38], off offset:40
	s_waitcnt vmcnt(1)
	v_lshlrev_b32_e32 v34, 16, v34
	s_waitcnt vmcnt(0)
	v_lshlrev_b32_e32 v35, 16, v35
	v_fmac_f32_e32 v32, v35, v34
	s_or_b64 exec, exec, s[76:77]
	s_and_saveexec_b64 s[76:77], s[70:71]
	s_cbranch_execz .LBB53_29
.LBB53_53:                              ;   in Loop: Header=BB53_7 Depth=2
	v_lshlrev_b64 v[35:36], 1, v[2:3]
	v_add_u32_e32 v34, s78, v11
	v_add_co_u32_e32 v37, vcc, s24, v35
	v_ashrrev_i32_e32 v35, 31, v34
	v_mov_b32_e32 v38, s25
	v_lshlrev_b64 v[34:35], 1, v[34:35]
	v_addc_co_u32_e32 v38, vcc, v38, v36, vcc
	v_mov_b32_e32 v36, s21
	v_add_co_u32_e32 v34, vcc, s20, v34
	v_addc_co_u32_e32 v35, vcc, v36, v35, vcc
	global_load_ushort v34, v[34:35], off
	s_nop 0
	global_load_ushort v35, v[37:38], off offset:42
	s_waitcnt vmcnt(1)
	v_lshlrev_b32_e32 v34, 16, v34
	s_waitcnt vmcnt(0)
	v_lshlrev_b32_e32 v35, 16, v35
	v_fmac_f32_e32 v32, v35, v34
	s_or_b64 exec, exec, s[76:77]
	s_and_saveexec_b64 s[76:77], s[72:73]
	s_cbranch_execz .LBB53_30
.LBB53_54:                              ;   in Loop: Header=BB53_7 Depth=2
	v_lshlrev_b64 v[35:36], 1, v[2:3]
	v_add_u32_e32 v34, s78, v10
	v_add_co_u32_e32 v37, vcc, s24, v35
	v_ashrrev_i32_e32 v35, 31, v34
	v_mov_b32_e32 v38, s25
	v_lshlrev_b64 v[34:35], 1, v[34:35]
	v_addc_co_u32_e32 v38, vcc, v38, v36, vcc
	v_mov_b32_e32 v36, s21
	v_add_co_u32_e32 v34, vcc, s20, v34
	v_addc_co_u32_e32 v35, vcc, v36, v35, vcc
	global_load_ushort v34, v[34:35], off
	s_nop 0
	global_load_ushort v35, v[37:38], off offset:44
	s_waitcnt vmcnt(1)
	v_lshlrev_b32_e32 v34, 16, v34
	s_waitcnt vmcnt(0)
	v_lshlrev_b32_e32 v35, 16, v35
	v_fmac_f32_e32 v32, v35, v34
	s_or_b64 exec, exec, s[76:77]
	s_and_saveexec_b64 s[76:77], s[74:75]
	s_cbranch_execz .LBB53_31
.LBB53_55:                              ;   in Loop: Header=BB53_7 Depth=2
	v_lshlrev_b64 v[35:36], 1, v[2:3]
	v_add_u32_e32 v34, s78, v9
	v_add_co_u32_e32 v37, vcc, s24, v35
	v_ashrrev_i32_e32 v35, 31, v34
	v_mov_b32_e32 v38, s25
	v_lshlrev_b64 v[34:35], 1, v[34:35]
	v_addc_co_u32_e32 v38, vcc, v38, v36, vcc
	v_mov_b32_e32 v36, s21
	v_add_co_u32_e32 v34, vcc, s20, v34
	v_addc_co_u32_e32 v35, vcc, v36, v35, vcc
	global_load_ushort v34, v[34:35], off
	s_nop 0
	global_load_ushort v35, v[37:38], off offset:46
	s_waitcnt vmcnt(1)
	v_lshlrev_b32_e32 v34, 16, v34
	s_waitcnt vmcnt(0)
	v_lshlrev_b32_e32 v35, 16, v35
	v_fmac_f32_e32 v32, v35, v34
	s_or_b64 exec, exec, s[76:77]
	s_and_saveexec_b64 s[76:77], s[2:3]
	s_cbranch_execz .LBB53_6
.LBB53_56:                              ;   in Loop: Header=BB53_7 Depth=2
	v_lshlrev_b64 v[35:36], 1, v[2:3]
	v_add_u32_e32 v34, s78, v8
	v_add_co_u32_e32 v37, vcc, s24, v35
	v_ashrrev_i32_e32 v35, 31, v34
	v_mov_b32_e32 v3, s25
	v_lshlrev_b64 v[34:35], 1, v[34:35]
	v_addc_co_u32_e32 v38, vcc, v3, v36, vcc
	v_mov_b32_e32 v3, s21
	v_add_co_u32_e32 v34, vcc, s20, v34
	v_addc_co_u32_e32 v35, vcc, v3, v35, vcc
	global_load_ushort v3, v[34:35], off
	s_nop 0
	global_load_ushort v34, v[37:38], off offset:48
	s_waitcnt vmcnt(1)
	v_lshlrev_b32_e32 v3, 16, v3
	s_waitcnt vmcnt(0)
	v_lshlrev_b32_e32 v34, 16, v34
	v_fmac_f32_e32 v32, v34, v3
	s_branch .LBB53_6
.LBB53_57:
	s_endpgm
	.section	.rodata,"a",@progbits
	.p2align	6, 0x0
	.amdhsa_kernel _ZN2at6native12_GLOBAL__N_132conv_depthwise2d_backward_kernelILi5ELi2EN3c108BFloat16EiEEvN5torch10headeronly6detail27GenericPackedTensorAccessorINS7_14TensorAccessorINS3_8ArrayRefIlEEKT1_Lm3ENS6_16DefaultPtrTraitsEiEENS_6detail16IndexBoundsCheckILm4EiEESD_Lm4ESE_iEENS8_INS9_ISB_SC_Lm3ESE_iEESI_SC_Lm4ESE_iEESJ_T2_iiiiiiiiiiiiiii
		.amdhsa_group_segment_fixed_size 0
		.amdhsa_private_segment_fixed_size 0
		.amdhsa_kernarg_size 440
		.amdhsa_user_sgpr_count 6
		.amdhsa_user_sgpr_private_segment_buffer 1
		.amdhsa_user_sgpr_dispatch_ptr 0
		.amdhsa_user_sgpr_queue_ptr 0
		.amdhsa_user_sgpr_kernarg_segment_ptr 1
		.amdhsa_user_sgpr_dispatch_id 0
		.amdhsa_user_sgpr_flat_scratch_init 0
		.amdhsa_user_sgpr_private_segment_size 0
		.amdhsa_uses_dynamic_stack 0
		.amdhsa_system_sgpr_private_segment_wavefront_offset 0
		.amdhsa_system_sgpr_workgroup_id_x 1
		.amdhsa_system_sgpr_workgroup_id_y 0
		.amdhsa_system_sgpr_workgroup_id_z 0
		.amdhsa_system_sgpr_workgroup_info 0
		.amdhsa_system_vgpr_workitem_id 0
		.amdhsa_next_free_vgpr 39
		.amdhsa_next_free_sgpr 91
		.amdhsa_reserve_vcc 1
		.amdhsa_reserve_flat_scratch 0
		.amdhsa_float_round_mode_32 0
		.amdhsa_float_round_mode_16_64 0
		.amdhsa_float_denorm_mode_32 3
		.amdhsa_float_denorm_mode_16_64 3
		.amdhsa_dx10_clamp 1
		.amdhsa_ieee_mode 1
		.amdhsa_fp16_overflow 0
		.amdhsa_exception_fp_ieee_invalid_op 0
		.amdhsa_exception_fp_denorm_src 0
		.amdhsa_exception_fp_ieee_div_zero 0
		.amdhsa_exception_fp_ieee_overflow 0
		.amdhsa_exception_fp_ieee_underflow 0
		.amdhsa_exception_fp_ieee_inexact 0
		.amdhsa_exception_int_div_zero 0
	.end_amdhsa_kernel
	.section	.text._ZN2at6native12_GLOBAL__N_132conv_depthwise2d_backward_kernelILi5ELi2EN3c108BFloat16EiEEvN5torch10headeronly6detail27GenericPackedTensorAccessorINS7_14TensorAccessorINS3_8ArrayRefIlEEKT1_Lm3ENS6_16DefaultPtrTraitsEiEENS_6detail16IndexBoundsCheckILm4EiEESD_Lm4ESE_iEENS8_INS9_ISB_SC_Lm3ESE_iEESI_SC_Lm4ESE_iEESJ_T2_iiiiiiiiiiiiiii,"axG",@progbits,_ZN2at6native12_GLOBAL__N_132conv_depthwise2d_backward_kernelILi5ELi2EN3c108BFloat16EiEEvN5torch10headeronly6detail27GenericPackedTensorAccessorINS7_14TensorAccessorINS3_8ArrayRefIlEEKT1_Lm3ENS6_16DefaultPtrTraitsEiEENS_6detail16IndexBoundsCheckILm4EiEESD_Lm4ESE_iEENS8_INS9_ISB_SC_Lm3ESE_iEESI_SC_Lm4ESE_iEESJ_T2_iiiiiiiiiiiiiii,comdat
.Lfunc_end53:
	.size	_ZN2at6native12_GLOBAL__N_132conv_depthwise2d_backward_kernelILi5ELi2EN3c108BFloat16EiEEvN5torch10headeronly6detail27GenericPackedTensorAccessorINS7_14TensorAccessorINS3_8ArrayRefIlEEKT1_Lm3ENS6_16DefaultPtrTraitsEiEENS_6detail16IndexBoundsCheckILm4EiEESD_Lm4ESE_iEENS8_INS9_ISB_SC_Lm3ESE_iEESI_SC_Lm4ESE_iEESJ_T2_iiiiiiiiiiiiiii, .Lfunc_end53-_ZN2at6native12_GLOBAL__N_132conv_depthwise2d_backward_kernelILi5ELi2EN3c108BFloat16EiEEvN5torch10headeronly6detail27GenericPackedTensorAccessorINS7_14TensorAccessorINS3_8ArrayRefIlEEKT1_Lm3ENS6_16DefaultPtrTraitsEiEENS_6detail16IndexBoundsCheckILm4EiEESD_Lm4ESE_iEENS8_INS9_ISB_SC_Lm3ESE_iEESI_SC_Lm4ESE_iEESJ_T2_iiiiiiiiiiiiiii
                                        ; -- End function
	.set _ZN2at6native12_GLOBAL__N_132conv_depthwise2d_backward_kernelILi5ELi2EN3c108BFloat16EiEEvN5torch10headeronly6detail27GenericPackedTensorAccessorINS7_14TensorAccessorINS3_8ArrayRefIlEEKT1_Lm3ENS6_16DefaultPtrTraitsEiEENS_6detail16IndexBoundsCheckILm4EiEESD_Lm4ESE_iEENS8_INS9_ISB_SC_Lm3ESE_iEESI_SC_Lm4ESE_iEESJ_T2_iiiiiiiiiiiiiii.num_vgpr, 39
	.set _ZN2at6native12_GLOBAL__N_132conv_depthwise2d_backward_kernelILi5ELi2EN3c108BFloat16EiEEvN5torch10headeronly6detail27GenericPackedTensorAccessorINS7_14TensorAccessorINS3_8ArrayRefIlEEKT1_Lm3ENS6_16DefaultPtrTraitsEiEENS_6detail16IndexBoundsCheckILm4EiEESD_Lm4ESE_iEENS8_INS9_ISB_SC_Lm3ESE_iEESI_SC_Lm4ESE_iEESJ_T2_iiiiiiiiiiiiiii.num_agpr, 0
	.set _ZN2at6native12_GLOBAL__N_132conv_depthwise2d_backward_kernelILi5ELi2EN3c108BFloat16EiEEvN5torch10headeronly6detail27GenericPackedTensorAccessorINS7_14TensorAccessorINS3_8ArrayRefIlEEKT1_Lm3ENS6_16DefaultPtrTraitsEiEENS_6detail16IndexBoundsCheckILm4EiEESD_Lm4ESE_iEENS8_INS9_ISB_SC_Lm3ESE_iEESI_SC_Lm4ESE_iEESJ_T2_iiiiiiiiiiiiiii.numbered_sgpr, 91
	.set _ZN2at6native12_GLOBAL__N_132conv_depthwise2d_backward_kernelILi5ELi2EN3c108BFloat16EiEEvN5torch10headeronly6detail27GenericPackedTensorAccessorINS7_14TensorAccessorINS3_8ArrayRefIlEEKT1_Lm3ENS6_16DefaultPtrTraitsEiEENS_6detail16IndexBoundsCheckILm4EiEESD_Lm4ESE_iEENS8_INS9_ISB_SC_Lm3ESE_iEESI_SC_Lm4ESE_iEESJ_T2_iiiiiiiiiiiiiii.num_named_barrier, 0
	.set _ZN2at6native12_GLOBAL__N_132conv_depthwise2d_backward_kernelILi5ELi2EN3c108BFloat16EiEEvN5torch10headeronly6detail27GenericPackedTensorAccessorINS7_14TensorAccessorINS3_8ArrayRefIlEEKT1_Lm3ENS6_16DefaultPtrTraitsEiEENS_6detail16IndexBoundsCheckILm4EiEESD_Lm4ESE_iEENS8_INS9_ISB_SC_Lm3ESE_iEESI_SC_Lm4ESE_iEESJ_T2_iiiiiiiiiiiiiii.private_seg_size, 0
	.set _ZN2at6native12_GLOBAL__N_132conv_depthwise2d_backward_kernelILi5ELi2EN3c108BFloat16EiEEvN5torch10headeronly6detail27GenericPackedTensorAccessorINS7_14TensorAccessorINS3_8ArrayRefIlEEKT1_Lm3ENS6_16DefaultPtrTraitsEiEENS_6detail16IndexBoundsCheckILm4EiEESD_Lm4ESE_iEENS8_INS9_ISB_SC_Lm3ESE_iEESI_SC_Lm4ESE_iEESJ_T2_iiiiiiiiiiiiiii.uses_vcc, 1
	.set _ZN2at6native12_GLOBAL__N_132conv_depthwise2d_backward_kernelILi5ELi2EN3c108BFloat16EiEEvN5torch10headeronly6detail27GenericPackedTensorAccessorINS7_14TensorAccessorINS3_8ArrayRefIlEEKT1_Lm3ENS6_16DefaultPtrTraitsEiEENS_6detail16IndexBoundsCheckILm4EiEESD_Lm4ESE_iEENS8_INS9_ISB_SC_Lm3ESE_iEESI_SC_Lm4ESE_iEESJ_T2_iiiiiiiiiiiiiii.uses_flat_scratch, 0
	.set _ZN2at6native12_GLOBAL__N_132conv_depthwise2d_backward_kernelILi5ELi2EN3c108BFloat16EiEEvN5torch10headeronly6detail27GenericPackedTensorAccessorINS7_14TensorAccessorINS3_8ArrayRefIlEEKT1_Lm3ENS6_16DefaultPtrTraitsEiEENS_6detail16IndexBoundsCheckILm4EiEESD_Lm4ESE_iEENS8_INS9_ISB_SC_Lm3ESE_iEESI_SC_Lm4ESE_iEESJ_T2_iiiiiiiiiiiiiii.has_dyn_sized_stack, 0
	.set _ZN2at6native12_GLOBAL__N_132conv_depthwise2d_backward_kernelILi5ELi2EN3c108BFloat16EiEEvN5torch10headeronly6detail27GenericPackedTensorAccessorINS7_14TensorAccessorINS3_8ArrayRefIlEEKT1_Lm3ENS6_16DefaultPtrTraitsEiEENS_6detail16IndexBoundsCheckILm4EiEESD_Lm4ESE_iEENS8_INS9_ISB_SC_Lm3ESE_iEESI_SC_Lm4ESE_iEESJ_T2_iiiiiiiiiiiiiii.has_recursion, 0
	.set _ZN2at6native12_GLOBAL__N_132conv_depthwise2d_backward_kernelILi5ELi2EN3c108BFloat16EiEEvN5torch10headeronly6detail27GenericPackedTensorAccessorINS7_14TensorAccessorINS3_8ArrayRefIlEEKT1_Lm3ENS6_16DefaultPtrTraitsEiEENS_6detail16IndexBoundsCheckILm4EiEESD_Lm4ESE_iEENS8_INS9_ISB_SC_Lm3ESE_iEESI_SC_Lm4ESE_iEESJ_T2_iiiiiiiiiiiiiii.has_indirect_call, 0
	.section	.AMDGPU.csdata,"",@progbits
; Kernel info:
; codeLenInByte = 4792
; TotalNumSgprs: 95
; NumVgprs: 39
; ScratchSize: 0
; MemoryBound: 0
; FloatMode: 240
; IeeeMode: 1
; LDSByteSize: 0 bytes/workgroup (compile time only)
; SGPRBlocks: 11
; VGPRBlocks: 9
; NumSGPRsForWavesPerEU: 95
; NumVGPRsForWavesPerEU: 39
; Occupancy: 6
; WaveLimiterHint : 0
; COMPUTE_PGM_RSRC2:SCRATCH_EN: 0
; COMPUTE_PGM_RSRC2:USER_SGPR: 6
; COMPUTE_PGM_RSRC2:TRAP_HANDLER: 0
; COMPUTE_PGM_RSRC2:TGID_X_EN: 1
; COMPUTE_PGM_RSRC2:TGID_Y_EN: 0
; COMPUTE_PGM_RSRC2:TGID_Z_EN: 0
; COMPUTE_PGM_RSRC2:TIDIG_COMP_CNT: 0
	.section	.text._ZN2at6native12_GLOBAL__N_132conv_depthwise2d_backward_kernelILi5ELi0EN3c108BFloat16EiEEvN5torch10headeronly6detail27GenericPackedTensorAccessorINS7_14TensorAccessorINS3_8ArrayRefIlEEKT1_Lm3ENS6_16DefaultPtrTraitsEiEENS_6detail16IndexBoundsCheckILm4EiEESD_Lm4ESE_iEENS8_INS9_ISB_SC_Lm3ESE_iEESI_SC_Lm4ESE_iEESJ_T2_iiiiiiiiiiiiiii,"axG",@progbits,_ZN2at6native12_GLOBAL__N_132conv_depthwise2d_backward_kernelILi5ELi0EN3c108BFloat16EiEEvN5torch10headeronly6detail27GenericPackedTensorAccessorINS7_14TensorAccessorINS3_8ArrayRefIlEEKT1_Lm3ENS6_16DefaultPtrTraitsEiEENS_6detail16IndexBoundsCheckILm4EiEESD_Lm4ESE_iEENS8_INS9_ISB_SC_Lm3ESE_iEESI_SC_Lm4ESE_iEESJ_T2_iiiiiiiiiiiiiii,comdat
	.globl	_ZN2at6native12_GLOBAL__N_132conv_depthwise2d_backward_kernelILi5ELi0EN3c108BFloat16EiEEvN5torch10headeronly6detail27GenericPackedTensorAccessorINS7_14TensorAccessorINS3_8ArrayRefIlEEKT1_Lm3ENS6_16DefaultPtrTraitsEiEENS_6detail16IndexBoundsCheckILm4EiEESD_Lm4ESE_iEENS8_INS9_ISB_SC_Lm3ESE_iEESI_SC_Lm4ESE_iEESJ_T2_iiiiiiiiiiiiiii ; -- Begin function _ZN2at6native12_GLOBAL__N_132conv_depthwise2d_backward_kernelILi5ELi0EN3c108BFloat16EiEEvN5torch10headeronly6detail27GenericPackedTensorAccessorINS7_14TensorAccessorINS3_8ArrayRefIlEEKT1_Lm3ENS6_16DefaultPtrTraitsEiEENS_6detail16IndexBoundsCheckILm4EiEESD_Lm4ESE_iEENS8_INS9_ISB_SC_Lm3ESE_iEESI_SC_Lm4ESE_iEESJ_T2_iiiiiiiiiiiiiii
	.p2align	8
	.type	_ZN2at6native12_GLOBAL__N_132conv_depthwise2d_backward_kernelILi5ELi0EN3c108BFloat16EiEEvN5torch10headeronly6detail27GenericPackedTensorAccessorINS7_14TensorAccessorINS3_8ArrayRefIlEEKT1_Lm3ENS6_16DefaultPtrTraitsEiEENS_6detail16IndexBoundsCheckILm4EiEESD_Lm4ESE_iEENS8_INS9_ISB_SC_Lm3ESE_iEESI_SC_Lm4ESE_iEESJ_T2_iiiiiiiiiiiiiii,@function
_ZN2at6native12_GLOBAL__N_132conv_depthwise2d_backward_kernelILi5ELi0EN3c108BFloat16EiEEvN5torch10headeronly6detail27GenericPackedTensorAccessorINS7_14TensorAccessorINS3_8ArrayRefIlEEKT1_Lm3ENS6_16DefaultPtrTraitsEiEENS_6detail16IndexBoundsCheckILm4EiEESD_Lm4ESE_iEENS8_INS9_ISB_SC_Lm3ESE_iEESI_SC_Lm4ESE_iEESJ_T2_iiiiiiiiiiiiiii: ; @_ZN2at6native12_GLOBAL__N_132conv_depthwise2d_backward_kernelILi5ELi0EN3c108BFloat16EiEEvN5torch10headeronly6detail27GenericPackedTensorAccessorINS7_14TensorAccessorINS3_8ArrayRefIlEEKT1_Lm3ENS6_16DefaultPtrTraitsEiEENS_6detail16IndexBoundsCheckILm4EiEESD_Lm4ESE_iEENS8_INS9_ISB_SC_Lm3ESE_iEESI_SC_Lm4ESE_iEESJ_T2_iiiiiiiiiiiiiii
; %bb.0:
	s_load_dword s2, s[4:5], 0xc4
	s_load_dwordx16 s[56:71], s[4:5], 0x78
	s_add_u32 s0, s4, 0xb8
	s_addc_u32 s1, s5, 0
	v_mov_b32_e32 v1, 0
	s_waitcnt lgkmcnt(0)
	s_and_b32 s2, s2, 0xffff
	v_mov_b32_e32 v2, s6
	v_mad_u64_u32 v[0:1], s[6:7], s2, v2, v[0:1]
	s_ashr_i32 s7, s56, 31
	s_mov_b32 s6, s56
                                        ; implicit-def: $vgpr45 : SGPR spill to VGPR lane
	v_writelane_b32 v45, s6, 0
	v_cmp_gt_i64_e32 vcc, s[6:7], v[0:1]
	v_writelane_b32 v45, s7, 1
	s_and_saveexec_b64 s[6:7], vcc
	s_cbranch_execz .LBB54_205
; %bb.1:
	s_cmp_gt_i32 s58, 0
	s_load_dword s3, s[0:1], 0x0
	s_cselect_b64 s[0:1], -1, 0
	s_abs_i32 s85, s60
	v_cvt_f32_u32_e32 v2, s85
	s_load_dwordx2 s[74:75], s[4:5], 0x0
	s_load_dwordx2 s[6:7], s[4:5], 0x28
	;; [unrolled: 1-line block ×3, first 2 shown]
                                        ; kill: killed $sgpr4 killed $sgpr5
	s_abs_i32 s4, s61
	v_rcp_iflag_f32_e32 v2, v2
	v_cvt_f32_u32_e32 v3, s4
	s_waitcnt lgkmcnt(0)
	v_writelane_b32 v45, s6, 2
	v_writelane_b32 v45, s7, 3
	v_mul_f32_e32 v2, 0x4f7ffffe, v2
	v_rcp_iflag_f32_e32 v3, v3
	v_cvt_u32_f32_e32 v2, v2
	s_mul_i32 s2, s3, s2
	v_writelane_b32 v45, s2, 4
	s_ashr_i32 s2, s60, 31
	s_abs_i32 s3, s57
	v_writelane_b32 v45, s2, 5
	s_sub_i32 s2, 0, s85
	v_mul_f32_e32 v3, 0x4f7ffffe, v3
	v_cvt_f32_u32_e32 v5, s3
	v_mul_lo_u32 v4, s2, v2
	v_cvt_u32_f32_e32 v3, v3
	s_sub_i32 s2, 0, s4
	v_rcp_iflag_f32_e32 v5, v5
	v_mul_hi_u32 v4, v2, v4
	v_mul_lo_u32 v6, s2, v3
	s_abs_i32 s56, s67
	v_mul_f32_e32 v5, 0x4f7ffffe, v5
	v_add_u32_e32 v4, v2, v4
	v_mul_hi_u32 v2, v3, v6
	v_cvt_u32_f32_e32 v6, v5
	v_cvt_f32_u32_e32 v5, s56
	s_abs_i32 s33, s66
	v_cvt_f32_u32_e32 v7, s33
	v_writelane_b32 v45, s4, 6
	v_rcp_iflag_f32_e32 v9, v5
	v_add_u32_e32 v5, v3, v2
	v_rcp_iflag_f32_e32 v2, v7
	s_ashr_i32 s2, s61, 31
	v_writelane_b32 v45, s2, 7
	s_sub_i32 s2, 0, s3
	v_mul_f32_e32 v7, 0x4f7ffffe, v9
	v_mul_lo_u32 v8, s2, v6
	v_cvt_u32_f32_e32 v7, v7
	v_mul_f32_e32 v2, 0x4f7ffffe, v2
	v_cvt_u32_f32_e32 v2, v2
	s_sub_i32 s2, 0, s56
	v_mul_hi_u32 v3, v6, v8
	v_mul_lo_u32 v8, s2, v7
	s_sub_i32 s2, 0, s33
	v_mul_lo_u32 v9, s2, v2
	v_add_u32_e32 v6, v6, v3
	v_mul_hi_u32 v8, v7, v8
	v_writelane_b32 v45, s3, 8
	v_mul_hi_u32 v3, v2, v9
	s_ashr_i32 s2, s57, 31
	v_writelane_b32 v45, s2, 9
	s_ashr_i32 s2, s67, 31
	v_writelane_b32 v45, s2, 10
	v_add_u32_e32 v7, v7, v8
	s_ashr_i32 s2, s66, 31
	v_add_u32_e32 v8, v2, v3
	v_cndmask_b32_e64 v2, 0, 1, s[0:1]
	v_writelane_b32 v45, s2, 11
	v_cmp_ne_u32_e64 s[0:1], 1, v2
	s_mul_i32 s82, s65, s64
	s_mov_b64 s[64:65], 0
	v_writelane_b32 v45, s0, 12
	v_mov_b32_e32 v9, 0x7fc0
	v_writelane_b32 v45, s1, 13
	s_branch .LBB54_4
.LBB54_2:                               ;   in Loop: Header=BB54_4 Depth=1
	v_mov_b32_e32 v34, 0
.LBB54_3:                               ;   in Loop: Header=BB54_4 Depth=1
	v_bfe_u32 v2, v34, 16, 1
	s_movk_i32 s0, 0x7fff
	v_add3_u32 v2, v34, v2, s0
	v_cmp_o_f32_e32 vcc, v34, v34
	v_readlane_b32 s0, v45, 4
	v_cndmask_b32_sdwa v10, v9, v2, vcc dst_sel:DWORD dst_unused:UNUSED_PAD src0_sel:DWORD src1_sel:WORD_1
	v_lshlrev_b64 v[2:3], 1, v[0:1]
	v_add_co_u32_e32 v0, vcc, s0, v0
	v_readlane_b32 s0, v45, 0
	v_readlane_b32 s2, v45, 2
	v_addc_co_u32_e32 v1, vcc, 0, v1, vcc
	v_readlane_b32 s1, v45, 1
	v_readlane_b32 s3, v45, 3
	v_cmp_le_i64_e32 vcc, s[0:1], v[0:1]
	v_mov_b32_e32 v11, s3
	v_add_co_u32_e64 v2, s[2:3], s2, v2
	v_addc_co_u32_e64 v3, s[2:3], v11, v3, s[2:3]
	s_or_b64 s[64:65], vcc, s[64:65]
	global_store_short v[2:3], v10, off
	s_andn2_b64 exec, exec, s[64:65]
	s_cbranch_execz .LBB54_205
.LBB54_4:                               ; =>This Loop Header: Depth=1
                                        ;     Child Loop BB54_9 Depth 2
	v_readlane_b32 s0, v45, 12
	v_readlane_b32 s1, v45, 13
	s_and_b64 vcc, exec, s[0:1]
	s_cbranch_vccnz .LBB54_2
; %bb.5:                                ;   in Loop: Header=BB54_4 Depth=1
	v_sub_u32_e32 v3, 0, v0
	v_max_i32_e32 v3, v0, v3
	v_mul_hi_u32 v10, v3, v4
	v_ashrrev_i32_e32 v2, 31, v0
	v_readlane_b32 s0, v45, 5
	v_xor_b32_e32 v2, s0, v2
	v_mul_lo_u32 v11, v10, s85
	v_readlane_b32 s0, v45, 7
	v_add_u32_e32 v16, s68, v0
	v_readlane_b32 s28, v45, 11
	v_sub_u32_e32 v3, v3, v11
	v_cmp_le_u32_e32 vcc, s85, v3
	v_add_u32_e32 v11, 1, v10
	v_cndmask_b32_e32 v10, v10, v11, vcc
	v_subrev_u32_e32 v11, s85, v3
	v_cndmask_b32_e32 v3, v3, v11, vcc
	v_cmp_le_u32_e32 vcc, s85, v3
	v_add_u32_e32 v3, 1, v10
	v_cndmask_b32_e32 v3, v10, v3, vcc
	v_xor_b32_e32 v3, v3, v2
	v_sub_u32_e32 v2, v3, v2
	v_sub_u32_e32 v10, 0, v2
	v_max_i32_e32 v10, v2, v10
	v_mul_hi_u32 v11, v10, v5
	v_ashrrev_i32_e32 v3, 31, v2
	v_xor_b32_e32 v3, s0, v3
	v_readlane_b32 s0, v45, 6
	v_mul_lo_u32 v12, v11, s0
	v_add_u32_e32 v17, s69, v2
	v_mul_lo_u32 v2, v2, s60
	s_mov_b32 s83, 0
	v_sub_u32_e32 v10, v10, v12
	v_cmp_le_u32_e32 vcc, s0, v10
	v_add_u32_e32 v12, 1, v11
	v_cndmask_b32_e32 v11, v11, v12, vcc
	v_subrev_u32_e32 v12, s0, v10
	v_cndmask_b32_e32 v10, v10, v12, vcc
	v_cmp_le_u32_e32 vcc, s0, v10
	v_add_u32_e32 v10, 1, v11
	v_cndmask_b32_e32 v10, v11, v10, vcc
	v_xor_b32_e32 v10, v10, v3
	v_sub_u32_e32 v3, v10, v3
	v_sub_u32_e32 v11, 0, v3
	v_max_i32_e32 v11, v3, v11
	v_mul_hi_u32 v12, v11, v6
	v_ashrrev_i32_e32 v10, 31, v3
	v_readlane_b32 s0, v45, 9
	v_xor_b32_e32 v10, s0, v10
	v_readlane_b32 s0, v45, 8
	v_mul_lo_u32 v13, v12, s0
	v_mul_lo_u32 v15, v3, s61
	s_mov_b32 s84, s58
	v_sub_u32_e32 v11, v11, v13
	v_cmp_le_u32_e32 vcc, s0, v11
	v_add_u32_e32 v13, 1, v12
	v_cndmask_b32_e32 v12, v12, v13, vcc
	v_subrev_u32_e32 v13, s0, v11
	v_cndmask_b32_e32 v11, v11, v13, vcc
	v_cmp_le_u32_e32 vcc, s0, v11
	v_add_u32_e32 v11, 1, v12
	v_cndmask_b32_e32 v11, v12, v11, vcc
	v_xor_b32_e32 v11, v11, v10
	v_sub_u32_e32 v11, v11, v10
	v_mul_lo_u32 v10, v11, s57
	v_readlane_b32 s0, v45, 10
	v_sub_u32_e32 v10, v3, v10
	v_mul_lo_u32 v3, v11, s59
	v_sub_u32_e32 v11, v17, v15
	v_ashrrev_i32_e32 v12, 31, v11
	v_xor_b32_e32 v30, s0, v12
	v_sub_u32_e32 v12, 0, v11
	v_max_i32_e32 v12, v11, v12
	v_mul_hi_u32 v13, v12, v7
	v_add_u32_e32 v15, s71, v15
	v_mul_lo_u32 v14, v13, s56
	v_sub_u32_e32 v12, v12, v14
	v_cmp_le_u32_e32 vcc, s56, v12
	v_add_u32_e32 v14, 1, v13
	v_cndmask_b32_e32 v13, v13, v14, vcc
	v_subrev_u32_e32 v14, s56, v12
	v_cndmask_b32_e32 v12, v12, v14, vcc
	v_cmp_le_u32_e32 vcc, s56, v12
	v_add_u32_e32 v12, 1, v13
	v_cndmask_b32_e32 v12, v13, v12, vcc
	v_xor_b32_e32 v31, v12, v30
	v_sub_u32_e32 v27, v31, v30
	v_mul_lo_u32 v12, v27, s67
	v_sub_u32_e32 v14, v16, v2
	v_add_u32_e32 v2, s70, v2
	v_sub_u32_e32 v13, v16, v2
	v_add_u32_e32 v2, s70, v2
	v_sub_u32_e32 v11, v11, v12
	v_sub_u32_e32 v12, v16, v2
	v_add_u32_e32 v2, s70, v2
	v_cmp_eq_u32_e32 vcc, 0, v11
	v_sub_u32_e32 v11, v16, v2
	v_add_u32_e32 v2, s70, v2
	v_sub_u32_e32 v2, v16, v2
	v_sub_u32_e32 v16, v17, v15
	v_ashrrev_i32_e32 v18, 31, v16
	v_xor_b32_e32 v25, s0, v18
	v_sub_u32_e32 v18, 0, v16
	v_max_i32_e32 v18, v16, v18
	v_mul_hi_u32 v19, v18, v7
	v_add_u32_e32 v15, s71, v15
	v_cmp_lt_i32_e64 s[12:13], -1, v27
	v_cmp_gt_i32_e64 s[22:23], s63, v27
	v_mul_lo_u32 v20, v19, s56
	v_sub_u32_e32 v39, 0, v11
	v_max_i32_e32 v39, v11, v39
	v_mul_hi_u32 v40, v39, v8
	v_sub_u32_e32 v18, v18, v20
	v_cmp_le_u32_e64 s[2:3], s56, v18
	v_add_u32_e32 v20, 1, v19
	v_cndmask_b32_e64 v19, v19, v20, s[2:3]
	v_subrev_u32_e32 v20, s56, v18
	v_cndmask_b32_e64 v18, v18, v20, s[2:3]
	v_cmp_le_u32_e64 s[2:3], s56, v18
	v_add_u32_e32 v18, 1, v19
	v_cndmask_b32_e64 v18, v19, v18, s[2:3]
	v_xor_b32_e32 v26, v18, v25
	v_sub_u32_e32 v19, v26, v25
	v_mul_lo_u32 v18, v19, s67
	v_mul_lo_u32 v41, v40, s33
	v_sub_u32_e32 v16, v16, v18
	v_cmp_eq_u32_e64 s[2:3], 0, v16
	v_sub_u32_e32 v16, v17, v15
	v_ashrrev_i32_e32 v18, 31, v16
	v_xor_b32_e32 v20, s0, v18
	v_sub_u32_e32 v18, 0, v16
	v_max_i32_e32 v18, v16, v18
	v_mul_hi_u32 v21, v18, v7
	v_sub_u32_e32 v39, v39, v41
	v_subrev_u32_e32 v41, s33, v39
	v_mul_lo_u32 v22, v21, s56
	v_sub_u32_e32 v18, v18, v22
	v_cmp_le_u32_e64 s[4:5], s56, v18
	v_add_u32_e32 v22, 1, v21
	v_cndmask_b32_e64 v21, v21, v22, s[4:5]
	v_subrev_u32_e32 v22, s56, v18
	v_cndmask_b32_e64 v18, v18, v22, s[4:5]
	v_cmp_le_u32_e64 s[4:5], s56, v18
	v_add_u32_e32 v18, 1, v21
	v_cndmask_b32_e64 v18, v21, v18, s[4:5]
	v_xor_b32_e32 v21, v18, v20
	v_sub_u32_e32 v22, v21, v20
	v_mul_lo_u32 v18, v22, s67
	v_sub_u32_e32 v16, v16, v18
	v_add_u32_e32 v18, s71, v15
	v_sub_u32_e32 v24, v17, v18
	v_cmp_eq_u32_e64 s[4:5], 0, v16
	v_sub_u32_e32 v16, 0, v24
	v_max_i32_e32 v16, v24, v16
	v_mul_hi_u32 v23, v16, v7
	v_ashrrev_i32_e32 v15, 31, v24
	v_xor_b32_e32 v15, s0, v15
	v_add_u32_e32 v18, s71, v18
	v_mul_lo_u32 v28, v23, s56
	v_sub_u32_e32 v16, v16, v28
	v_cmp_le_u32_e64 s[6:7], s56, v16
	v_add_u32_e32 v28, 1, v23
	v_cndmask_b32_e64 v23, v23, v28, s[6:7]
	v_subrev_u32_e32 v28, s56, v16
	v_cndmask_b32_e64 v16, v16, v28, s[6:7]
	v_cmp_le_u32_e64 s[6:7], s56, v16
	v_add_u32_e32 v16, 1, v23
	v_cndmask_b32_e64 v16, v23, v16, s[6:7]
	v_xor_b32_e32 v16, v16, v15
	v_sub_u32_e32 v23, v16, v15
	v_mul_lo_u32 v28, v23, s67
	v_sub_u32_e32 v24, v24, v28
	v_sub_u32_e32 v28, v17, v18
	;; [unrolled: 1-line block ×3, first 2 shown]
	v_max_i32_e32 v18, v28, v18
	v_cmp_eq_u32_e64 s[6:7], 0, v24
	v_mul_hi_u32 v24, v18, v7
	v_ashrrev_i32_e32 v17, 31, v28
	v_xor_b32_e32 v17, s0, v17
	v_mul_lo_u32 v29, v24, s56
	v_sub_u32_e32 v18, v18, v29
	v_cmp_le_u32_e64 s[8:9], s56, v18
	v_add_u32_e32 v29, 1, v24
	v_cndmask_b32_e64 v24, v24, v29, s[8:9]
	v_subrev_u32_e32 v29, s56, v18
	v_cndmask_b32_e64 v18, v18, v29, s[8:9]
	v_cmp_le_u32_e64 s[8:9], s56, v18
	v_add_u32_e32 v18, 1, v24
	v_cndmask_b32_e64 v18, v24, v18, s[8:9]
	v_xor_b32_e32 v18, v18, v17
	v_sub_u32_e32 v24, v18, v17
	v_mul_lo_u32 v29, v24, s67
	v_sub_u32_e32 v28, v28, v29
	v_sub_u32_e32 v29, 0, v14
	v_max_i32_e32 v29, v14, v29
	v_mul_hi_u32 v32, v29, v8
	v_cmp_eq_u32_e64 s[8:9], 0, v28
	v_ashrrev_i32_e32 v28, 31, v14
	v_xor_b32_e32 v34, s28, v28
	v_mul_lo_u32 v33, v32, s33
	v_add_u32_e32 v27, 1, v32
	v_sub_u32_e32 v29, v29, v33
	v_cmp_le_u32_e64 s[14:15], s33, v29
	v_subrev_u32_e32 v33, s33, v29
	v_cndmask_b32_e64 v29, v29, v33, s[14:15]
	v_subrev_u32_e32 v33, s33, v29
	v_cmp_le_u32_e64 s[16:17], s33, v29
	v_cndmask_b32_e64 v29, v29, v33, s[16:17]
	v_xor_b32_e32 v29, v29, v28
	v_sub_u32_e32 v29, v29, v28
	v_cmp_eq_u32_e64 s[10:11], 0, v29
	v_sub_u32_e32 v29, 0, v13
	v_max_i32_e32 v29, v13, v29
	v_cndmask_b32_e64 v27, v32, v27, s[14:15]
	v_mul_hi_u32 v32, v29, v8
	v_add_u32_e32 v28, 1, v27
	v_cndmask_b32_e64 v27, v27, v28, s[16:17]
	v_ashrrev_i32_e32 v28, 31, v13
	v_mul_lo_u32 v33, v32, s33
	v_xor_b32_e32 v35, v27, v34
	v_sub_u32_e32 v27, v35, v34
	v_cmp_lt_i32_e64 s[34:35], -1, v27
	v_sub_u32_e32 v29, v29, v33
	v_cmp_le_u32_e64 s[16:17], s33, v29
	v_subrev_u32_e32 v33, s33, v29
	v_cndmask_b32_e64 v29, v29, v33, s[16:17]
	v_subrev_u32_e32 v33, s33, v29
	v_cmp_le_u32_e64 s[18:19], s33, v29
	v_cndmask_b32_e64 v29, v29, v33, s[18:19]
	v_xor_b32_e32 v29, v29, v28
	v_sub_u32_e32 v29, v29, v28
	v_xor_b32_e32 v33, s28, v28
	v_add_u32_e32 v28, 1, v32
	v_cndmask_b32_e64 v28, v32, v28, s[16:17]
	v_sub_u32_e32 v32, 0, v12
	v_max_i32_e32 v32, v12, v32
	v_mul_hi_u32 v37, v32, v8
	v_cmp_gt_i32_e64 s[36:37], s62, v27
	s_and_b64 s[0:1], s[34:35], s[36:37]
	s_and_b64 s[14:15], s[22:23], s[0:1]
	v_mul_lo_u32 v38, v37, s33
	v_writelane_b32 v45, s14, 14
	v_writelane_b32 v45, s15, 15
	v_cmp_eq_u32_e64 s[14:15], 0, v29
	v_add_u32_e32 v29, 1, v28
	v_cndmask_b32_e64 v28, v28, v29, s[18:19]
	v_sub_u32_e32 v32, v32, v38
	v_xor_b32_e32 v36, v28, v33
	v_cmp_le_u32_e64 s[18:19], s33, v32
	v_subrev_u32_e32 v38, s33, v32
	v_sub_u32_e32 v28, v36, v33
	v_cndmask_b32_e64 v32, v32, v38, s[18:19]
	v_cmp_lt_i32_e64 s[38:39], -1, v28
	v_cmp_gt_i32_e64 s[40:41], s62, v28
	v_subrev_u32_e32 v38, s33, v32
	v_cmp_le_u32_e64 s[20:21], s33, v32
	s_and_b64 s[30:31], s[38:39], s[40:41]
	v_ashrrev_i32_e32 v29, 31, v12
	v_cndmask_b32_e64 v32, v32, v38, s[20:21]
	s_and_b64 s[16:17], s[22:23], s[30:31]
	v_xor_b32_e32 v32, v32, v29
	v_writelane_b32 v45, s16, 16
	v_sub_u32_e32 v32, v32, v29
	v_writelane_b32 v45, s17, 17
	v_cmp_eq_u32_e64 s[16:17], 0, v32
	v_xor_b32_e32 v32, s28, v29
	v_add_u32_e32 v29, 1, v37
	v_cndmask_b32_e64 v29, v37, v29, s[18:19]
	v_add_u32_e32 v37, 1, v29
	v_cndmask_b32_e64 v29, v29, v37, s[20:21]
	v_cmp_le_u32_e64 s[20:21], s33, v39
	v_cndmask_b32_e64 v39, v39, v41, s[20:21]
	v_subrev_u32_e32 v41, s33, v39
	v_cmp_le_u32_e64 s[24:25], s33, v39
	v_cndmask_b32_e64 v39, v39, v41, s[24:25]
	v_sub_u32_e32 v41, 0, v2
	v_xor_b32_e32 v37, v29, v32
	v_max_i32_e32 v41, v2, v41
	v_sub_u32_e32 v29, v37, v32
	v_mul_hi_u32 v43, v41, v8
	v_cmp_lt_i32_e64 s[42:43], -1, v29
	v_cmp_gt_i32_e64 s[44:45], s62, v29
	s_and_b64 s[54:55], s[42:43], s[44:45]
	v_ashrrev_i32_e32 v38, 31, v11
	s_and_b64 s[18:19], s[22:23], s[54:55]
	v_xor_b32_e32 v39, v39, v38
	v_writelane_b32 v45, s18, 18
	v_sub_u32_e32 v39, v39, v38
	v_mul_lo_u32 v44, v43, s33
	v_writelane_b32 v45, s19, 19
	v_cmp_eq_u32_e64 s[18:19], 0, v39
	v_add_u32_e32 v39, 1, v40
	v_cndmask_b32_e64 v39, v40, v39, s[20:21]
	v_add_u32_e32 v40, 1, v39
	v_xor_b32_e32 v38, s28, v38
	v_cndmask_b32_e64 v39, v39, v40, s[24:25]
	v_sub_u32_e32 v41, v41, v44
	v_xor_b32_e32 v39, v39, v38
	v_cmp_le_u32_e64 s[24:25], s33, v41
	v_subrev_u32_e32 v44, s33, v41
	v_sub_u32_e32 v42, v39, v38
	v_cndmask_b32_e64 v41, v41, v44, s[24:25]
	v_cmp_lt_i32_e64 s[46:47], -1, v42
	v_cmp_gt_i32_e64 s[48:49], s62, v42
	v_subrev_u32_e32 v44, s33, v41
	v_cmp_le_u32_e64 s[26:27], s33, v41
	s_and_b64 s[72:73], s[46:47], s[48:49]
	v_ashrrev_i32_e32 v40, 31, v2
	v_cndmask_b32_e64 v41, v41, v44, s[26:27]
	s_and_b64 s[20:21], s[22:23], s[72:73]
	v_xor_b32_e32 v41, v41, v40
	v_writelane_b32 v45, s20, 20
	v_sub_u32_e32 v41, v41, v40
	v_writelane_b32 v45, s21, 21
	v_cmp_eq_u32_e64 s[20:21], 0, v41
	v_add_u32_e32 v41, 1, v43
	v_cndmask_b32_e64 v41, v43, v41, s[24:25]
	v_add_u32_e32 v43, 1, v41
	v_xor_b32_e32 v40, s28, v40
	v_cndmask_b32_e64 v41, v41, v43, s[26:27]
	v_xor_b32_e32 v41, v41, v40
	v_sub_u32_e32 v43, v41, v40
	v_cmp_lt_i32_e64 s[50:51], -1, v43
	v_cmp_gt_i32_e64 s[52:53], s62, v43
	s_and_b64 s[76:77], s[50:51], s[52:53]
	s_and_b64 s[22:23], s[22:23], s[76:77]
	v_writelane_b32 v45, s22, 22
	v_cmp_gt_i32_e64 s[24:25], s63, v19
	v_writelane_b32 v45, s23, 23
	s_and_b64 s[26:27], s[24:25], s[0:1]
	v_writelane_b32 v45, s26, 24
	v_writelane_b32 v45, s27, 25
	s_and_b64 s[26:27], s[24:25], s[30:31]
	v_writelane_b32 v45, s26, 26
	;; [unrolled: 3-line block ×5, first 2 shown]
	v_cmp_gt_i32_e64 s[26:27], s63, v22
	v_writelane_b32 v45, s25, 33
	s_and_b64 s[28:29], s[26:27], s[0:1]
	v_writelane_b32 v45, s28, 34
	v_writelane_b32 v45, s29, 35
	s_and_b64 s[28:29], s[26:27], s[30:31]
	v_writelane_b32 v45, s28, 36
	v_cmp_lt_i32_e64 s[22:23], -1, v19
	v_writelane_b32 v45, s29, 37
	s_and_b64 s[28:29], s[26:27], s[54:55]
	v_mul_lo_u32 v19, v27, s66
	v_writelane_b32 v45, s28, 38
	v_writelane_b32 v45, s29, 39
	s_and_b64 s[28:29], s[26:27], s[72:73]
	v_writelane_b32 v45, s28, 40
	v_writelane_b32 v45, s29, 41
	v_cmp_gt_i32_e64 s[28:29], s63, v23
	v_sub_u32_e32 v14, v14, v19
	s_and_b64 s[88:89], s[28:29], s[0:1]
	s_and_b64 s[90:91], s[28:29], s[30:31]
	;; [unrolled: 1-line block ×5, first 2 shown]
	v_cmp_eq_u32_e64 s[28:29], 0, v14
	v_mul_lo_u32 v14, v28, s66
	v_cmp_gt_i32_e64 s[54:55], s63, v24
	s_and_b64 s[36:37], s[36:37], s[54:55]
	s_and_b64 s[72:73], s[36:37], s[34:35]
	v_sub_u32_e32 v13, v13, v14
	v_cmp_eq_u32_e64 s[34:35], 0, v13
	v_mul_lo_u32 v13, v29, s66
	s_and_b64 s[36:37], s[40:41], s[54:55]
	s_and_b64 s[86:87], s[26:27], s[76:77]
	;; [unrolled: 1-line block ×3, first 2 shown]
	v_sub_u32_e32 v12, v12, v13
	v_cmp_eq_u32_e64 s[36:37], 0, v12
	v_mul_lo_u32 v12, v42, s66
	s_and_b64 s[38:39], s[44:45], s[54:55]
	s_and_b64 s[42:43], s[38:39], s[42:43]
	;; [unrolled: 1-line block ×3, first 2 shown]
	v_sub_u32_e32 v11, v11, v12
	v_cmp_eq_u32_e64 s[38:39], 0, v11
	v_mul_lo_u32 v11, v43, s66
	v_cmp_lt_i32_e64 s[30:31], -1, v24
	s_and_b64 s[44:45], s[40:41], s[46:47]
	v_cmp_lt_i32_e64 s[24:25], -1, v22
	v_sub_u32_e32 v2, v2, v11
	v_cmp_eq_u32_e64 s[40:41], 0, v2
	s_and_b64 s[46:47], s[40:41], s[30:31]
	s_and_b64 s[40:41], s[52:53], s[54:55]
	;; [unrolled: 1-line block ×3, first 2 shown]
	s_mul_i32 s40, s82, s58
	v_mul_lo_u32 v2, s40, v10
	v_mad_u64_u32 v[10:11], s[40:41], v10, s58, v[3:4]
	v_cmp_lt_i32_e64 s[26:27], -1, v23
	v_mul_lo_u32 v3, s63, v10
	v_add_u32_e32 v10, v18, v3
	v_add_u32_e32 v16, v16, v3
	;; [unrolled: 1-line block ×5, first 2 shown]
	v_sub_u32_e32 v10, v10, v17
	v_sub_u32_e32 v15, v16, v15
	;; [unrolled: 1-line block ×5, first 2 shown]
	v_mul_lo_u32 v14, s62, v10
	v_mul_lo_u32 v19, s62, v15
	;; [unrolled: 1-line block ×5, first 2 shown]
	v_add_u32_e32 v10, v41, v14
	v_add_u32_e32 v11, v39, v14
	v_add_u32_e32 v12, v37, v14
	v_add_u32_e32 v13, v36, v14
	v_add_u32_e32 v14, v35, v14
	v_add_u32_e32 v15, v41, v19
	v_add_u32_e32 v16, v39, v19
	v_add_u32_e32 v17, v37, v19
	v_add_u32_e32 v18, v36, v19
	v_add_u32_e32 v19, v35, v19
	v_add_u32_e32 v20, v41, v24
	v_add_u32_e32 v21, v39, v24
	v_add_u32_e32 v22, v37, v24
	v_add_u32_e32 v23, v36, v24
	v_add_u32_e32 v24, v35, v24
	v_add_u32_e32 v25, v41, v29
	v_add_u32_e32 v26, v39, v29
	v_add_u32_e32 v27, v37, v29
	v_add_u32_e32 v28, v36, v29
	v_add_u32_e32 v29, v35, v29
	v_add_u32_e32 v30, v41, v3
	v_add_u32_e32 v31, v39, v3
	v_add_u32_e32 v37, v37, v3
	v_add_u32_e32 v36, v36, v3
	v_add_u32_e32 v3, v35, v3
	v_sub_u32_e32 v10, v10, v40
	v_sub_u32_e32 v11, v11, v38
	;; [unrolled: 1-line block ×25, first 2 shown]
	v_mov_b32_e32 v34, 0
	s_branch .LBB54_9
.LBB54_6:                               ;   in Loop: Header=BB54_9 Depth=2
	s_or_b64 exec, exec, s[54:55]
.LBB54_7:                               ;   in Loop: Header=BB54_9 Depth=2
	s_or_b64 exec, exec, s[52:53]
.LBB54_8:                               ;   in Loop: Header=BB54_9 Depth=2
	s_or_b64 exec, exec, s[50:51]
	s_mul_i32 s40, s63, s62
	s_add_i32 s84, s84, -1
	s_add_i32 s83, s83, s40
	s_cmp_eq_u32 s84, 0
	v_add_u32_e32 v2, s82, v2
	s_cbranch_scc1 .LBB54_3
.LBB54_9:                               ;   Parent Loop BB54_4 Depth=1
                                        ; =>  This Inner Loop Header: Depth=2
	s_and_saveexec_b64 s[50:51], vcc
	s_cbranch_execnz .LBB54_34
; %bb.10:                               ;   in Loop: Header=BB54_9 Depth=2
	s_or_b64 exec, exec, s[50:51]
	s_and_saveexec_b64 s[50:51], vcc
	s_cbranch_execnz .LBB54_41
.LBB54_11:                              ;   in Loop: Header=BB54_9 Depth=2
	s_or_b64 exec, exec, s[50:51]
	s_and_saveexec_b64 s[50:51], vcc
	s_cbranch_execnz .LBB54_48
.LBB54_12:                              ;   in Loop: Header=BB54_9 Depth=2
	s_or_b64 exec, exec, s[50:51]
	s_and_saveexec_b64 s[50:51], vcc
	s_cbranch_execnz .LBB54_55
.LBB54_13:                              ;   in Loop: Header=BB54_9 Depth=2
	s_or_b64 exec, exec, s[50:51]
	s_and_saveexec_b64 s[50:51], vcc
	s_cbranch_execnz .LBB54_62
.LBB54_14:                              ;   in Loop: Header=BB54_9 Depth=2
	s_or_b64 exec, exec, s[50:51]
	s_and_saveexec_b64 s[50:51], s[2:3]
	s_cbranch_execnz .LBB54_69
.LBB54_15:                              ;   in Loop: Header=BB54_9 Depth=2
	s_or_b64 exec, exec, s[50:51]
	s_and_saveexec_b64 s[50:51], s[2:3]
	s_cbranch_execnz .LBB54_76
.LBB54_16:                              ;   in Loop: Header=BB54_9 Depth=2
	s_or_b64 exec, exec, s[50:51]
	s_and_saveexec_b64 s[50:51], s[2:3]
	s_cbranch_execnz .LBB54_83
.LBB54_17:                              ;   in Loop: Header=BB54_9 Depth=2
	s_or_b64 exec, exec, s[50:51]
	s_and_saveexec_b64 s[50:51], s[2:3]
	s_cbranch_execnz .LBB54_90
.LBB54_18:                              ;   in Loop: Header=BB54_9 Depth=2
	s_or_b64 exec, exec, s[50:51]
	s_and_saveexec_b64 s[50:51], s[2:3]
	s_cbranch_execnz .LBB54_97
.LBB54_19:                              ;   in Loop: Header=BB54_9 Depth=2
	s_or_b64 exec, exec, s[50:51]
	s_and_saveexec_b64 s[50:51], s[4:5]
	s_cbranch_execnz .LBB54_104
.LBB54_20:                              ;   in Loop: Header=BB54_9 Depth=2
	s_or_b64 exec, exec, s[50:51]
	s_and_saveexec_b64 s[50:51], s[4:5]
	s_cbranch_execnz .LBB54_111
.LBB54_21:                              ;   in Loop: Header=BB54_9 Depth=2
	s_or_b64 exec, exec, s[50:51]
	s_and_saveexec_b64 s[50:51], s[4:5]
	s_cbranch_execnz .LBB54_118
.LBB54_22:                              ;   in Loop: Header=BB54_9 Depth=2
	s_or_b64 exec, exec, s[50:51]
	s_and_saveexec_b64 s[50:51], s[4:5]
	s_cbranch_execnz .LBB54_125
.LBB54_23:                              ;   in Loop: Header=BB54_9 Depth=2
	s_or_b64 exec, exec, s[50:51]
	s_and_saveexec_b64 s[50:51], s[4:5]
	s_cbranch_execnz .LBB54_132
.LBB54_24:                              ;   in Loop: Header=BB54_9 Depth=2
	s_or_b64 exec, exec, s[50:51]
	s_and_saveexec_b64 s[50:51], s[6:7]
	s_cbranch_execnz .LBB54_139
.LBB54_25:                              ;   in Loop: Header=BB54_9 Depth=2
	s_or_b64 exec, exec, s[50:51]
	s_and_saveexec_b64 s[50:51], s[6:7]
	s_cbranch_execnz .LBB54_146
.LBB54_26:                              ;   in Loop: Header=BB54_9 Depth=2
	s_or_b64 exec, exec, s[50:51]
	s_and_saveexec_b64 s[50:51], s[6:7]
	s_cbranch_execnz .LBB54_153
.LBB54_27:                              ;   in Loop: Header=BB54_9 Depth=2
	s_or_b64 exec, exec, s[50:51]
	s_and_saveexec_b64 s[50:51], s[6:7]
	s_cbranch_execnz .LBB54_160
.LBB54_28:                              ;   in Loop: Header=BB54_9 Depth=2
	s_or_b64 exec, exec, s[50:51]
	s_and_saveexec_b64 s[50:51], s[6:7]
	s_cbranch_execnz .LBB54_167
.LBB54_29:                              ;   in Loop: Header=BB54_9 Depth=2
	s_or_b64 exec, exec, s[50:51]
	s_and_saveexec_b64 s[50:51], s[8:9]
	s_cbranch_execnz .LBB54_174
.LBB54_30:                              ;   in Loop: Header=BB54_9 Depth=2
	s_or_b64 exec, exec, s[50:51]
	s_and_saveexec_b64 s[50:51], s[8:9]
	s_cbranch_execnz .LBB54_181
.LBB54_31:                              ;   in Loop: Header=BB54_9 Depth=2
	s_or_b64 exec, exec, s[50:51]
	s_and_saveexec_b64 s[50:51], s[8:9]
	s_cbranch_execnz .LBB54_188
.LBB54_32:                              ;   in Loop: Header=BB54_9 Depth=2
	s_or_b64 exec, exec, s[50:51]
	s_and_saveexec_b64 s[50:51], s[8:9]
	s_cbranch_execnz .LBB54_195
.LBB54_33:                              ;   in Loop: Header=BB54_9 Depth=2
	s_or_b64 exec, exec, s[50:51]
	s_and_saveexec_b64 s[50:51], s[8:9]
	s_cbranch_execz .LBB54_8
	s_branch .LBB54_202
.LBB54_34:                              ;   in Loop: Header=BB54_9 Depth=2
	s_and_saveexec_b64 s[52:53], s[10:11]
	s_cbranch_execz .LBB54_40
; %bb.35:                               ;   in Loop: Header=BB54_9 Depth=2
	s_and_saveexec_b64 s[54:55], s[12:13]
	s_cbranch_execz .LBB54_39
; %bb.36:                               ;   in Loop: Header=BB54_9 Depth=2
	s_mov_b64 s[80:81], exec
	v_readlane_b32 s40, v45, 14
	v_readlane_b32 s41, v45, 15
	s_and_b64 s[40:41], s[80:81], s[40:41]
	s_mov_b64 exec, s[40:41]
	s_cbranch_execz .LBB54_38
; %bb.37:                               ;   in Loop: Header=BB54_9 Depth=2
	v_ashrrev_i32_e32 v3, 31, v2
	v_lshlrev_b64 v[37:38], 1, v[2:3]
	v_add_u32_e32 v36, s83, v35
	v_add_co_u32_e64 v39, s[40:41], s78, v37
	v_ashrrev_i32_e32 v37, 31, v36
	v_mov_b32_e32 v3, s79
	v_lshlrev_b64 v[36:37], 1, v[36:37]
	v_addc_co_u32_e64 v40, s[40:41], v3, v38, s[40:41]
	v_mov_b32_e32 v3, s75
	v_add_co_u32_e64 v36, s[40:41], s74, v36
	v_addc_co_u32_e64 v37, s[40:41], v3, v37, s[40:41]
	global_load_ushort v3, v[36:37], off
	s_nop 0
	global_load_ushort v36, v[39:40], off
	s_waitcnt vmcnt(1)
	v_lshlrev_b32_e32 v3, 16, v3
	s_waitcnt vmcnt(0)
	v_lshlrev_b32_e32 v36, 16, v36
	v_fmac_f32_e32 v34, v36, v3
.LBB54_38:                              ;   in Loop: Header=BB54_9 Depth=2
	s_or_b64 exec, exec, s[80:81]
.LBB54_39:                              ;   in Loop: Header=BB54_9 Depth=2
	s_or_b64 exec, exec, s[54:55]
.LBB54_40:                              ;   in Loop: Header=BB54_9 Depth=2
	s_or_b64 exec, exec, s[52:53]
	s_or_b64 exec, exec, s[50:51]
	s_and_saveexec_b64 s[50:51], vcc
	s_cbranch_execz .LBB54_11
.LBB54_41:                              ;   in Loop: Header=BB54_9 Depth=2
	s_and_saveexec_b64 s[52:53], s[14:15]
	s_cbranch_execz .LBB54_47
; %bb.42:                               ;   in Loop: Header=BB54_9 Depth=2
	s_and_saveexec_b64 s[54:55], s[12:13]
	s_cbranch_execz .LBB54_46
; %bb.43:                               ;   in Loop: Header=BB54_9 Depth=2
	s_mov_b64 s[80:81], exec
	v_readlane_b32 s40, v45, 16
	v_readlane_b32 s41, v45, 17
	s_and_b64 s[40:41], s[80:81], s[40:41]
	s_mov_b64 exec, s[40:41]
	s_cbranch_execz .LBB54_45
; %bb.44:                               ;   in Loop: Header=BB54_9 Depth=2
	v_ashrrev_i32_e32 v3, 31, v2
	v_lshlrev_b64 v[37:38], 1, v[2:3]
	v_add_u32_e32 v36, s83, v33
	v_add_co_u32_e64 v39, s[40:41], s78, v37
	v_ashrrev_i32_e32 v37, 31, v36
	v_mov_b32_e32 v3, s79
	v_lshlrev_b64 v[36:37], 1, v[36:37]
	v_addc_co_u32_e64 v40, s[40:41], v3, v38, s[40:41]
	v_mov_b32_e32 v3, s75
	v_add_co_u32_e64 v36, s[40:41], s74, v36
	v_addc_co_u32_e64 v37, s[40:41], v3, v37, s[40:41]
	global_load_ushort v3, v[36:37], off
	s_nop 0
	global_load_ushort v36, v[39:40], off offset:2
	s_waitcnt vmcnt(1)
	v_lshlrev_b32_e32 v3, 16, v3
	s_waitcnt vmcnt(0)
	v_lshlrev_b32_e32 v36, 16, v36
	v_fmac_f32_e32 v34, v36, v3
.LBB54_45:                              ;   in Loop: Header=BB54_9 Depth=2
	s_or_b64 exec, exec, s[80:81]
.LBB54_46:                              ;   in Loop: Header=BB54_9 Depth=2
	s_or_b64 exec, exec, s[54:55]
.LBB54_47:                              ;   in Loop: Header=BB54_9 Depth=2
	s_or_b64 exec, exec, s[52:53]
	s_or_b64 exec, exec, s[50:51]
	s_and_saveexec_b64 s[50:51], vcc
	s_cbranch_execz .LBB54_12
.LBB54_48:                              ;   in Loop: Header=BB54_9 Depth=2
	s_and_saveexec_b64 s[52:53], s[16:17]
	s_cbranch_execz .LBB54_54
; %bb.49:                               ;   in Loop: Header=BB54_9 Depth=2
	s_and_saveexec_b64 s[54:55], s[12:13]
	s_cbranch_execz .LBB54_53
; %bb.50:                               ;   in Loop: Header=BB54_9 Depth=2
	s_mov_b64 s[80:81], exec
	v_readlane_b32 s40, v45, 18
	v_readlane_b32 s41, v45, 19
	s_and_b64 s[40:41], s[80:81], s[40:41]
	s_mov_b64 exec, s[40:41]
	s_cbranch_execz .LBB54_52
; %bb.51:                               ;   in Loop: Header=BB54_9 Depth=2
	v_ashrrev_i32_e32 v3, 31, v2
	v_lshlrev_b64 v[37:38], 1, v[2:3]
	v_add_u32_e32 v36, s83, v32
	v_add_co_u32_e64 v39, s[40:41], s78, v37
	v_ashrrev_i32_e32 v37, 31, v36
	v_mov_b32_e32 v3, s79
	v_lshlrev_b64 v[36:37], 1, v[36:37]
	v_addc_co_u32_e64 v40, s[40:41], v3, v38, s[40:41]
	v_mov_b32_e32 v3, s75
	v_add_co_u32_e64 v36, s[40:41], s74, v36
	v_addc_co_u32_e64 v37, s[40:41], v3, v37, s[40:41]
	global_load_ushort v3, v[36:37], off
	s_nop 0
	global_load_ushort v36, v[39:40], off offset:4
	s_waitcnt vmcnt(1)
	v_lshlrev_b32_e32 v3, 16, v3
	s_waitcnt vmcnt(0)
	v_lshlrev_b32_e32 v36, 16, v36
	v_fmac_f32_e32 v34, v36, v3
.LBB54_52:                              ;   in Loop: Header=BB54_9 Depth=2
	s_or_b64 exec, exec, s[80:81]
.LBB54_53:                              ;   in Loop: Header=BB54_9 Depth=2
	s_or_b64 exec, exec, s[54:55]
.LBB54_54:                              ;   in Loop: Header=BB54_9 Depth=2
	s_or_b64 exec, exec, s[52:53]
	s_or_b64 exec, exec, s[50:51]
	s_and_saveexec_b64 s[50:51], vcc
	s_cbranch_execz .LBB54_13
.LBB54_55:                              ;   in Loop: Header=BB54_9 Depth=2
	s_and_saveexec_b64 s[52:53], s[18:19]
	s_cbranch_execz .LBB54_61
; %bb.56:                               ;   in Loop: Header=BB54_9 Depth=2
	s_and_saveexec_b64 s[54:55], s[12:13]
	s_cbranch_execz .LBB54_60
; %bb.57:                               ;   in Loop: Header=BB54_9 Depth=2
	s_mov_b64 s[80:81], exec
	v_readlane_b32 s40, v45, 20
	v_readlane_b32 s41, v45, 21
	s_and_b64 s[40:41], s[80:81], s[40:41]
	s_mov_b64 exec, s[40:41]
	s_cbranch_execz .LBB54_59
; %bb.58:                               ;   in Loop: Header=BB54_9 Depth=2
	v_ashrrev_i32_e32 v3, 31, v2
	v_lshlrev_b64 v[37:38], 1, v[2:3]
	v_add_u32_e32 v36, s83, v31
	v_add_co_u32_e64 v39, s[40:41], s78, v37
	v_ashrrev_i32_e32 v37, 31, v36
	v_mov_b32_e32 v3, s79
	v_lshlrev_b64 v[36:37], 1, v[36:37]
	v_addc_co_u32_e64 v40, s[40:41], v3, v38, s[40:41]
	v_mov_b32_e32 v3, s75
	v_add_co_u32_e64 v36, s[40:41], s74, v36
	v_addc_co_u32_e64 v37, s[40:41], v3, v37, s[40:41]
	global_load_ushort v3, v[36:37], off
	s_nop 0
	global_load_ushort v36, v[39:40], off offset:6
	s_waitcnt vmcnt(1)
	v_lshlrev_b32_e32 v3, 16, v3
	s_waitcnt vmcnt(0)
	v_lshlrev_b32_e32 v36, 16, v36
	v_fmac_f32_e32 v34, v36, v3
.LBB54_59:                              ;   in Loop: Header=BB54_9 Depth=2
	s_or_b64 exec, exec, s[80:81]
.LBB54_60:                              ;   in Loop: Header=BB54_9 Depth=2
	s_or_b64 exec, exec, s[54:55]
.LBB54_61:                              ;   in Loop: Header=BB54_9 Depth=2
	s_or_b64 exec, exec, s[52:53]
	s_or_b64 exec, exec, s[50:51]
	s_and_saveexec_b64 s[50:51], vcc
	s_cbranch_execz .LBB54_14
.LBB54_62:                              ;   in Loop: Header=BB54_9 Depth=2
	s_and_saveexec_b64 s[52:53], s[20:21]
	s_cbranch_execz .LBB54_68
; %bb.63:                               ;   in Loop: Header=BB54_9 Depth=2
	s_and_saveexec_b64 s[54:55], s[12:13]
	s_cbranch_execz .LBB54_67
; %bb.64:                               ;   in Loop: Header=BB54_9 Depth=2
	s_mov_b64 s[80:81], exec
	v_readlane_b32 s40, v45, 22
	v_readlane_b32 s41, v45, 23
	s_and_b64 s[40:41], s[80:81], s[40:41]
	s_mov_b64 exec, s[40:41]
	s_cbranch_execz .LBB54_66
; %bb.65:                               ;   in Loop: Header=BB54_9 Depth=2
	v_ashrrev_i32_e32 v3, 31, v2
	v_lshlrev_b64 v[37:38], 1, v[2:3]
	v_add_u32_e32 v36, s83, v30
	v_add_co_u32_e64 v39, s[40:41], s78, v37
	v_ashrrev_i32_e32 v37, 31, v36
	v_mov_b32_e32 v3, s79
	v_lshlrev_b64 v[36:37], 1, v[36:37]
	v_addc_co_u32_e64 v40, s[40:41], v3, v38, s[40:41]
	v_mov_b32_e32 v3, s75
	v_add_co_u32_e64 v36, s[40:41], s74, v36
	v_addc_co_u32_e64 v37, s[40:41], v3, v37, s[40:41]
	global_load_ushort v3, v[36:37], off
	s_nop 0
	global_load_ushort v36, v[39:40], off offset:8
	s_waitcnt vmcnt(1)
	v_lshlrev_b32_e32 v3, 16, v3
	s_waitcnt vmcnt(0)
	v_lshlrev_b32_e32 v36, 16, v36
	v_fmac_f32_e32 v34, v36, v3
.LBB54_66:                              ;   in Loop: Header=BB54_9 Depth=2
	s_or_b64 exec, exec, s[80:81]
.LBB54_67:                              ;   in Loop: Header=BB54_9 Depth=2
	s_or_b64 exec, exec, s[54:55]
.LBB54_68:                              ;   in Loop: Header=BB54_9 Depth=2
	s_or_b64 exec, exec, s[52:53]
	s_or_b64 exec, exec, s[50:51]
	s_and_saveexec_b64 s[50:51], s[2:3]
	s_cbranch_execz .LBB54_15
.LBB54_69:                              ;   in Loop: Header=BB54_9 Depth=2
	s_and_saveexec_b64 s[52:53], s[10:11]
	s_cbranch_execz .LBB54_75
; %bb.70:                               ;   in Loop: Header=BB54_9 Depth=2
	s_and_saveexec_b64 s[54:55], s[22:23]
	s_cbranch_execz .LBB54_74
; %bb.71:                               ;   in Loop: Header=BB54_9 Depth=2
	s_mov_b64 s[80:81], exec
	v_readlane_b32 s40, v45, 24
	v_readlane_b32 s41, v45, 25
	s_and_b64 s[40:41], s[80:81], s[40:41]
	s_mov_b64 exec, s[40:41]
	s_cbranch_execz .LBB54_73
; %bb.72:                               ;   in Loop: Header=BB54_9 Depth=2
	v_ashrrev_i32_e32 v3, 31, v2
	v_lshlrev_b64 v[37:38], 1, v[2:3]
	v_add_u32_e32 v36, s83, v29
	v_add_co_u32_e64 v39, s[40:41], s78, v37
	v_ashrrev_i32_e32 v37, 31, v36
	v_mov_b32_e32 v3, s79
	v_lshlrev_b64 v[36:37], 1, v[36:37]
	v_addc_co_u32_e64 v40, s[40:41], v3, v38, s[40:41]
	v_mov_b32_e32 v3, s75
	v_add_co_u32_e64 v36, s[40:41], s74, v36
	v_addc_co_u32_e64 v37, s[40:41], v3, v37, s[40:41]
	global_load_ushort v3, v[36:37], off
	s_nop 0
	global_load_ushort v36, v[39:40], off offset:10
	s_waitcnt vmcnt(1)
	v_lshlrev_b32_e32 v3, 16, v3
	s_waitcnt vmcnt(0)
	v_lshlrev_b32_e32 v36, 16, v36
	v_fmac_f32_e32 v34, v36, v3
.LBB54_73:                              ;   in Loop: Header=BB54_9 Depth=2
	s_or_b64 exec, exec, s[80:81]
.LBB54_74:                              ;   in Loop: Header=BB54_9 Depth=2
	s_or_b64 exec, exec, s[54:55]
.LBB54_75:                              ;   in Loop: Header=BB54_9 Depth=2
	s_or_b64 exec, exec, s[52:53]
	s_or_b64 exec, exec, s[50:51]
	s_and_saveexec_b64 s[50:51], s[2:3]
	s_cbranch_execz .LBB54_16
.LBB54_76:                              ;   in Loop: Header=BB54_9 Depth=2
	s_and_saveexec_b64 s[52:53], s[14:15]
	s_cbranch_execz .LBB54_82
; %bb.77:                               ;   in Loop: Header=BB54_9 Depth=2
	s_and_saveexec_b64 s[54:55], s[22:23]
	s_cbranch_execz .LBB54_81
; %bb.78:                               ;   in Loop: Header=BB54_9 Depth=2
	s_mov_b64 s[80:81], exec
	v_readlane_b32 s40, v45, 26
	v_readlane_b32 s41, v45, 27
	s_and_b64 s[40:41], s[80:81], s[40:41]
	s_mov_b64 exec, s[40:41]
	s_cbranch_execz .LBB54_80
; %bb.79:                               ;   in Loop: Header=BB54_9 Depth=2
	v_ashrrev_i32_e32 v3, 31, v2
	v_lshlrev_b64 v[37:38], 1, v[2:3]
	v_add_u32_e32 v36, s83, v28
	v_add_co_u32_e64 v39, s[40:41], s78, v37
	v_ashrrev_i32_e32 v37, 31, v36
	v_mov_b32_e32 v3, s79
	v_lshlrev_b64 v[36:37], 1, v[36:37]
	v_addc_co_u32_e64 v40, s[40:41], v3, v38, s[40:41]
	v_mov_b32_e32 v3, s75
	v_add_co_u32_e64 v36, s[40:41], s74, v36
	v_addc_co_u32_e64 v37, s[40:41], v3, v37, s[40:41]
	global_load_ushort v3, v[36:37], off
	s_nop 0
	global_load_ushort v36, v[39:40], off offset:12
	s_waitcnt vmcnt(1)
	v_lshlrev_b32_e32 v3, 16, v3
	s_waitcnt vmcnt(0)
	v_lshlrev_b32_e32 v36, 16, v36
	v_fmac_f32_e32 v34, v36, v3
.LBB54_80:                              ;   in Loop: Header=BB54_9 Depth=2
	s_or_b64 exec, exec, s[80:81]
.LBB54_81:                              ;   in Loop: Header=BB54_9 Depth=2
	s_or_b64 exec, exec, s[54:55]
.LBB54_82:                              ;   in Loop: Header=BB54_9 Depth=2
	s_or_b64 exec, exec, s[52:53]
	s_or_b64 exec, exec, s[50:51]
	s_and_saveexec_b64 s[50:51], s[2:3]
	s_cbranch_execz .LBB54_17
.LBB54_83:                              ;   in Loop: Header=BB54_9 Depth=2
	s_and_saveexec_b64 s[52:53], s[16:17]
	s_cbranch_execz .LBB54_89
; %bb.84:                               ;   in Loop: Header=BB54_9 Depth=2
	s_and_saveexec_b64 s[54:55], s[22:23]
	s_cbranch_execz .LBB54_88
; %bb.85:                               ;   in Loop: Header=BB54_9 Depth=2
	s_mov_b64 s[80:81], exec
	v_readlane_b32 s40, v45, 28
	v_readlane_b32 s41, v45, 29
	s_and_b64 s[40:41], s[80:81], s[40:41]
	s_mov_b64 exec, s[40:41]
	s_cbranch_execz .LBB54_87
; %bb.86:                               ;   in Loop: Header=BB54_9 Depth=2
	v_ashrrev_i32_e32 v3, 31, v2
	v_lshlrev_b64 v[37:38], 1, v[2:3]
	v_add_u32_e32 v36, s83, v27
	v_add_co_u32_e64 v39, s[40:41], s78, v37
	v_ashrrev_i32_e32 v37, 31, v36
	v_mov_b32_e32 v3, s79
	v_lshlrev_b64 v[36:37], 1, v[36:37]
	v_addc_co_u32_e64 v40, s[40:41], v3, v38, s[40:41]
	v_mov_b32_e32 v3, s75
	v_add_co_u32_e64 v36, s[40:41], s74, v36
	v_addc_co_u32_e64 v37, s[40:41], v3, v37, s[40:41]
	global_load_ushort v3, v[36:37], off
	s_nop 0
	global_load_ushort v36, v[39:40], off offset:14
	s_waitcnt vmcnt(1)
	v_lshlrev_b32_e32 v3, 16, v3
	s_waitcnt vmcnt(0)
	v_lshlrev_b32_e32 v36, 16, v36
	v_fmac_f32_e32 v34, v36, v3
.LBB54_87:                              ;   in Loop: Header=BB54_9 Depth=2
	s_or_b64 exec, exec, s[80:81]
.LBB54_88:                              ;   in Loop: Header=BB54_9 Depth=2
	s_or_b64 exec, exec, s[54:55]
.LBB54_89:                              ;   in Loop: Header=BB54_9 Depth=2
	s_or_b64 exec, exec, s[52:53]
	s_or_b64 exec, exec, s[50:51]
	s_and_saveexec_b64 s[50:51], s[2:3]
	s_cbranch_execz .LBB54_18
.LBB54_90:                              ;   in Loop: Header=BB54_9 Depth=2
	s_and_saveexec_b64 s[52:53], s[18:19]
	s_cbranch_execz .LBB54_96
; %bb.91:                               ;   in Loop: Header=BB54_9 Depth=2
	s_and_saveexec_b64 s[54:55], s[22:23]
	s_cbranch_execz .LBB54_95
; %bb.92:                               ;   in Loop: Header=BB54_9 Depth=2
	s_mov_b64 s[80:81], exec
	v_readlane_b32 s40, v45, 30
	v_readlane_b32 s41, v45, 31
	s_and_b64 s[40:41], s[80:81], s[40:41]
	s_mov_b64 exec, s[40:41]
	s_cbranch_execz .LBB54_94
; %bb.93:                               ;   in Loop: Header=BB54_9 Depth=2
	v_ashrrev_i32_e32 v3, 31, v2
	v_lshlrev_b64 v[37:38], 1, v[2:3]
	v_add_u32_e32 v36, s83, v26
	v_add_co_u32_e64 v39, s[40:41], s78, v37
	v_ashrrev_i32_e32 v37, 31, v36
	v_mov_b32_e32 v3, s79
	v_lshlrev_b64 v[36:37], 1, v[36:37]
	v_addc_co_u32_e64 v40, s[40:41], v3, v38, s[40:41]
	v_mov_b32_e32 v3, s75
	v_add_co_u32_e64 v36, s[40:41], s74, v36
	v_addc_co_u32_e64 v37, s[40:41], v3, v37, s[40:41]
	global_load_ushort v3, v[36:37], off
	s_nop 0
	global_load_ushort v36, v[39:40], off offset:16
	s_waitcnt vmcnt(1)
	v_lshlrev_b32_e32 v3, 16, v3
	s_waitcnt vmcnt(0)
	v_lshlrev_b32_e32 v36, 16, v36
	v_fmac_f32_e32 v34, v36, v3
.LBB54_94:                              ;   in Loop: Header=BB54_9 Depth=2
	s_or_b64 exec, exec, s[80:81]
.LBB54_95:                              ;   in Loop: Header=BB54_9 Depth=2
	s_or_b64 exec, exec, s[54:55]
.LBB54_96:                              ;   in Loop: Header=BB54_9 Depth=2
	s_or_b64 exec, exec, s[52:53]
	s_or_b64 exec, exec, s[50:51]
	s_and_saveexec_b64 s[50:51], s[2:3]
	s_cbranch_execz .LBB54_19
.LBB54_97:                              ;   in Loop: Header=BB54_9 Depth=2
	s_and_saveexec_b64 s[52:53], s[20:21]
	s_cbranch_execz .LBB54_103
; %bb.98:                               ;   in Loop: Header=BB54_9 Depth=2
	s_and_saveexec_b64 s[54:55], s[22:23]
	s_cbranch_execz .LBB54_102
; %bb.99:                               ;   in Loop: Header=BB54_9 Depth=2
	s_mov_b64 s[80:81], exec
	v_readlane_b32 s40, v45, 32
	v_readlane_b32 s41, v45, 33
	s_and_b64 s[40:41], s[80:81], s[40:41]
	s_mov_b64 exec, s[40:41]
	s_cbranch_execz .LBB54_101
; %bb.100:                              ;   in Loop: Header=BB54_9 Depth=2
	v_ashrrev_i32_e32 v3, 31, v2
	v_lshlrev_b64 v[37:38], 1, v[2:3]
	v_add_u32_e32 v36, s83, v25
	v_add_co_u32_e64 v39, s[40:41], s78, v37
	v_ashrrev_i32_e32 v37, 31, v36
	v_mov_b32_e32 v3, s79
	v_lshlrev_b64 v[36:37], 1, v[36:37]
	v_addc_co_u32_e64 v40, s[40:41], v3, v38, s[40:41]
	v_mov_b32_e32 v3, s75
	v_add_co_u32_e64 v36, s[40:41], s74, v36
	v_addc_co_u32_e64 v37, s[40:41], v3, v37, s[40:41]
	global_load_ushort v3, v[36:37], off
	s_nop 0
	global_load_ushort v36, v[39:40], off offset:18
	s_waitcnt vmcnt(1)
	v_lshlrev_b32_e32 v3, 16, v3
	s_waitcnt vmcnt(0)
	v_lshlrev_b32_e32 v36, 16, v36
	v_fmac_f32_e32 v34, v36, v3
.LBB54_101:                             ;   in Loop: Header=BB54_9 Depth=2
	s_or_b64 exec, exec, s[80:81]
.LBB54_102:                             ;   in Loop: Header=BB54_9 Depth=2
	s_or_b64 exec, exec, s[54:55]
.LBB54_103:                             ;   in Loop: Header=BB54_9 Depth=2
	s_or_b64 exec, exec, s[52:53]
	s_or_b64 exec, exec, s[50:51]
	s_and_saveexec_b64 s[50:51], s[4:5]
	s_cbranch_execz .LBB54_20
.LBB54_104:                             ;   in Loop: Header=BB54_9 Depth=2
	s_and_saveexec_b64 s[52:53], s[10:11]
	s_cbranch_execz .LBB54_110
; %bb.105:                              ;   in Loop: Header=BB54_9 Depth=2
	s_and_saveexec_b64 s[54:55], s[24:25]
	s_cbranch_execz .LBB54_109
; %bb.106:                              ;   in Loop: Header=BB54_9 Depth=2
	s_mov_b64 s[80:81], exec
	v_readlane_b32 s40, v45, 34
	v_readlane_b32 s41, v45, 35
	s_and_b64 s[40:41], s[80:81], s[40:41]
	s_mov_b64 exec, s[40:41]
	s_cbranch_execz .LBB54_108
; %bb.107:                              ;   in Loop: Header=BB54_9 Depth=2
	v_ashrrev_i32_e32 v3, 31, v2
	v_lshlrev_b64 v[37:38], 1, v[2:3]
	v_add_u32_e32 v36, s83, v24
	v_add_co_u32_e64 v39, s[40:41], s78, v37
	v_ashrrev_i32_e32 v37, 31, v36
	v_mov_b32_e32 v3, s79
	v_lshlrev_b64 v[36:37], 1, v[36:37]
	v_addc_co_u32_e64 v40, s[40:41], v3, v38, s[40:41]
	v_mov_b32_e32 v3, s75
	v_add_co_u32_e64 v36, s[40:41], s74, v36
	v_addc_co_u32_e64 v37, s[40:41], v3, v37, s[40:41]
	global_load_ushort v3, v[36:37], off
	s_nop 0
	global_load_ushort v36, v[39:40], off offset:20
	s_waitcnt vmcnt(1)
	v_lshlrev_b32_e32 v3, 16, v3
	s_waitcnt vmcnt(0)
	v_lshlrev_b32_e32 v36, 16, v36
	v_fmac_f32_e32 v34, v36, v3
.LBB54_108:                             ;   in Loop: Header=BB54_9 Depth=2
	s_or_b64 exec, exec, s[80:81]
.LBB54_109:                             ;   in Loop: Header=BB54_9 Depth=2
	s_or_b64 exec, exec, s[54:55]
.LBB54_110:                             ;   in Loop: Header=BB54_9 Depth=2
	s_or_b64 exec, exec, s[52:53]
	s_or_b64 exec, exec, s[50:51]
	s_and_saveexec_b64 s[50:51], s[4:5]
	s_cbranch_execz .LBB54_21
.LBB54_111:                             ;   in Loop: Header=BB54_9 Depth=2
	s_and_saveexec_b64 s[52:53], s[14:15]
	s_cbranch_execz .LBB54_117
; %bb.112:                              ;   in Loop: Header=BB54_9 Depth=2
	s_and_saveexec_b64 s[54:55], s[24:25]
	s_cbranch_execz .LBB54_116
; %bb.113:                              ;   in Loop: Header=BB54_9 Depth=2
	s_mov_b64 s[80:81], exec
	v_readlane_b32 s40, v45, 36
	v_readlane_b32 s41, v45, 37
	s_and_b64 s[40:41], s[80:81], s[40:41]
	s_mov_b64 exec, s[40:41]
	s_cbranch_execz .LBB54_115
; %bb.114:                              ;   in Loop: Header=BB54_9 Depth=2
	v_ashrrev_i32_e32 v3, 31, v2
	v_lshlrev_b64 v[37:38], 1, v[2:3]
	v_add_u32_e32 v36, s83, v23
	v_add_co_u32_e64 v39, s[40:41], s78, v37
	v_ashrrev_i32_e32 v37, 31, v36
	v_mov_b32_e32 v3, s79
	v_lshlrev_b64 v[36:37], 1, v[36:37]
	v_addc_co_u32_e64 v40, s[40:41], v3, v38, s[40:41]
	v_mov_b32_e32 v3, s75
	v_add_co_u32_e64 v36, s[40:41], s74, v36
	v_addc_co_u32_e64 v37, s[40:41], v3, v37, s[40:41]
	global_load_ushort v3, v[36:37], off
	s_nop 0
	global_load_ushort v36, v[39:40], off offset:22
	s_waitcnt vmcnt(1)
	v_lshlrev_b32_e32 v3, 16, v3
	s_waitcnt vmcnt(0)
	v_lshlrev_b32_e32 v36, 16, v36
	v_fmac_f32_e32 v34, v36, v3
.LBB54_115:                             ;   in Loop: Header=BB54_9 Depth=2
	s_or_b64 exec, exec, s[80:81]
.LBB54_116:                             ;   in Loop: Header=BB54_9 Depth=2
	s_or_b64 exec, exec, s[54:55]
.LBB54_117:                             ;   in Loop: Header=BB54_9 Depth=2
	s_or_b64 exec, exec, s[52:53]
	s_or_b64 exec, exec, s[50:51]
	s_and_saveexec_b64 s[50:51], s[4:5]
	s_cbranch_execz .LBB54_22
.LBB54_118:                             ;   in Loop: Header=BB54_9 Depth=2
	s_and_saveexec_b64 s[52:53], s[16:17]
	s_cbranch_execz .LBB54_124
; %bb.119:                              ;   in Loop: Header=BB54_9 Depth=2
	s_and_saveexec_b64 s[54:55], s[24:25]
	s_cbranch_execz .LBB54_123
; %bb.120:                              ;   in Loop: Header=BB54_9 Depth=2
	s_mov_b64 s[80:81], exec
	v_readlane_b32 s40, v45, 38
	v_readlane_b32 s41, v45, 39
	s_and_b64 s[40:41], s[80:81], s[40:41]
	s_mov_b64 exec, s[40:41]
	s_cbranch_execz .LBB54_122
; %bb.121:                              ;   in Loop: Header=BB54_9 Depth=2
	v_ashrrev_i32_e32 v3, 31, v2
	v_lshlrev_b64 v[37:38], 1, v[2:3]
	v_add_u32_e32 v36, s83, v22
	v_add_co_u32_e64 v39, s[40:41], s78, v37
	v_ashrrev_i32_e32 v37, 31, v36
	v_mov_b32_e32 v3, s79
	v_lshlrev_b64 v[36:37], 1, v[36:37]
	v_addc_co_u32_e64 v40, s[40:41], v3, v38, s[40:41]
	v_mov_b32_e32 v3, s75
	v_add_co_u32_e64 v36, s[40:41], s74, v36
	v_addc_co_u32_e64 v37, s[40:41], v3, v37, s[40:41]
	global_load_ushort v3, v[36:37], off
	s_nop 0
	global_load_ushort v36, v[39:40], off offset:24
	s_waitcnt vmcnt(1)
	v_lshlrev_b32_e32 v3, 16, v3
	s_waitcnt vmcnt(0)
	v_lshlrev_b32_e32 v36, 16, v36
	v_fmac_f32_e32 v34, v36, v3
.LBB54_122:                             ;   in Loop: Header=BB54_9 Depth=2
	s_or_b64 exec, exec, s[80:81]
.LBB54_123:                             ;   in Loop: Header=BB54_9 Depth=2
	s_or_b64 exec, exec, s[54:55]
.LBB54_124:                             ;   in Loop: Header=BB54_9 Depth=2
	s_or_b64 exec, exec, s[52:53]
	s_or_b64 exec, exec, s[50:51]
	s_and_saveexec_b64 s[50:51], s[4:5]
	s_cbranch_execz .LBB54_23
.LBB54_125:                             ;   in Loop: Header=BB54_9 Depth=2
	s_and_saveexec_b64 s[52:53], s[18:19]
	s_cbranch_execz .LBB54_131
; %bb.126:                              ;   in Loop: Header=BB54_9 Depth=2
	s_and_saveexec_b64 s[54:55], s[24:25]
	s_cbranch_execz .LBB54_130
; %bb.127:                              ;   in Loop: Header=BB54_9 Depth=2
	s_mov_b64 s[80:81], exec
	v_readlane_b32 s40, v45, 40
	v_readlane_b32 s41, v45, 41
	s_and_b64 s[40:41], s[80:81], s[40:41]
	s_mov_b64 exec, s[40:41]
	s_cbranch_execz .LBB54_129
; %bb.128:                              ;   in Loop: Header=BB54_9 Depth=2
	v_ashrrev_i32_e32 v3, 31, v2
	v_lshlrev_b64 v[37:38], 1, v[2:3]
	v_add_u32_e32 v36, s83, v21
	v_add_co_u32_e64 v39, s[40:41], s78, v37
	v_ashrrev_i32_e32 v37, 31, v36
	v_mov_b32_e32 v3, s79
	v_lshlrev_b64 v[36:37], 1, v[36:37]
	v_addc_co_u32_e64 v40, s[40:41], v3, v38, s[40:41]
	v_mov_b32_e32 v3, s75
	v_add_co_u32_e64 v36, s[40:41], s74, v36
	v_addc_co_u32_e64 v37, s[40:41], v3, v37, s[40:41]
	global_load_ushort v3, v[36:37], off
	s_nop 0
	global_load_ushort v36, v[39:40], off offset:26
	s_waitcnt vmcnt(1)
	v_lshlrev_b32_e32 v3, 16, v3
	s_waitcnt vmcnt(0)
	v_lshlrev_b32_e32 v36, 16, v36
	v_fmac_f32_e32 v34, v36, v3
.LBB54_129:                             ;   in Loop: Header=BB54_9 Depth=2
	s_or_b64 exec, exec, s[80:81]
.LBB54_130:                             ;   in Loop: Header=BB54_9 Depth=2
	s_or_b64 exec, exec, s[54:55]
.LBB54_131:                             ;   in Loop: Header=BB54_9 Depth=2
	s_or_b64 exec, exec, s[52:53]
	s_or_b64 exec, exec, s[50:51]
	s_and_saveexec_b64 s[50:51], s[4:5]
	s_cbranch_execz .LBB54_24
.LBB54_132:                             ;   in Loop: Header=BB54_9 Depth=2
	s_and_saveexec_b64 s[52:53], s[20:21]
	s_cbranch_execz .LBB54_138
; %bb.133:                              ;   in Loop: Header=BB54_9 Depth=2
	s_and_saveexec_b64 s[54:55], s[24:25]
	s_cbranch_execz .LBB54_137
; %bb.134:                              ;   in Loop: Header=BB54_9 Depth=2
	;; [unrolled: 3-line block ×3, first 2 shown]
	v_ashrrev_i32_e32 v3, 31, v2
	v_lshlrev_b64 v[37:38], 1, v[2:3]
	v_add_u32_e32 v36, s83, v20
	v_add_co_u32_e64 v39, s[40:41], s78, v37
	v_ashrrev_i32_e32 v37, 31, v36
	v_mov_b32_e32 v3, s79
	v_lshlrev_b64 v[36:37], 1, v[36:37]
	v_addc_co_u32_e64 v40, s[40:41], v3, v38, s[40:41]
	v_mov_b32_e32 v3, s75
	v_add_co_u32_e64 v36, s[40:41], s74, v36
	v_addc_co_u32_e64 v37, s[40:41], v3, v37, s[40:41]
	global_load_ushort v3, v[36:37], off
	s_nop 0
	global_load_ushort v36, v[39:40], off offset:28
	s_waitcnt vmcnt(1)
	v_lshlrev_b32_e32 v3, 16, v3
	s_waitcnt vmcnt(0)
	v_lshlrev_b32_e32 v36, 16, v36
	v_fmac_f32_e32 v34, v36, v3
.LBB54_136:                             ;   in Loop: Header=BB54_9 Depth=2
	s_or_b64 exec, exec, s[80:81]
.LBB54_137:                             ;   in Loop: Header=BB54_9 Depth=2
	s_or_b64 exec, exec, s[54:55]
.LBB54_138:                             ;   in Loop: Header=BB54_9 Depth=2
	s_or_b64 exec, exec, s[52:53]
	s_or_b64 exec, exec, s[50:51]
	s_and_saveexec_b64 s[50:51], s[6:7]
	s_cbranch_execz .LBB54_25
.LBB54_139:                             ;   in Loop: Header=BB54_9 Depth=2
	s_and_saveexec_b64 s[52:53], s[10:11]
	s_cbranch_execz .LBB54_145
; %bb.140:                              ;   in Loop: Header=BB54_9 Depth=2
	s_and_saveexec_b64 s[54:55], s[26:27]
	s_cbranch_execz .LBB54_144
; %bb.141:                              ;   in Loop: Header=BB54_9 Depth=2
	;; [unrolled: 3-line block ×3, first 2 shown]
	v_ashrrev_i32_e32 v3, 31, v2
	v_lshlrev_b64 v[37:38], 1, v[2:3]
	v_add_u32_e32 v36, s83, v19
	v_add_co_u32_e64 v39, s[40:41], s78, v37
	v_ashrrev_i32_e32 v37, 31, v36
	v_mov_b32_e32 v3, s79
	v_lshlrev_b64 v[36:37], 1, v[36:37]
	v_addc_co_u32_e64 v40, s[40:41], v3, v38, s[40:41]
	v_mov_b32_e32 v3, s75
	v_add_co_u32_e64 v36, s[40:41], s74, v36
	v_addc_co_u32_e64 v37, s[40:41], v3, v37, s[40:41]
	global_load_ushort v3, v[36:37], off
	s_nop 0
	global_load_ushort v36, v[39:40], off offset:30
	s_waitcnt vmcnt(1)
	v_lshlrev_b32_e32 v3, 16, v3
	s_waitcnt vmcnt(0)
	v_lshlrev_b32_e32 v36, 16, v36
	v_fmac_f32_e32 v34, v36, v3
.LBB54_143:                             ;   in Loop: Header=BB54_9 Depth=2
	s_or_b64 exec, exec, s[80:81]
.LBB54_144:                             ;   in Loop: Header=BB54_9 Depth=2
	s_or_b64 exec, exec, s[54:55]
.LBB54_145:                             ;   in Loop: Header=BB54_9 Depth=2
	s_or_b64 exec, exec, s[52:53]
	s_or_b64 exec, exec, s[50:51]
	s_and_saveexec_b64 s[50:51], s[6:7]
	s_cbranch_execz .LBB54_26
.LBB54_146:                             ;   in Loop: Header=BB54_9 Depth=2
	s_and_saveexec_b64 s[52:53], s[14:15]
	s_cbranch_execz .LBB54_152
; %bb.147:                              ;   in Loop: Header=BB54_9 Depth=2
	s_and_saveexec_b64 s[54:55], s[26:27]
	s_cbranch_execz .LBB54_151
; %bb.148:                              ;   in Loop: Header=BB54_9 Depth=2
	;; [unrolled: 3-line block ×3, first 2 shown]
	v_ashrrev_i32_e32 v3, 31, v2
	v_lshlrev_b64 v[37:38], 1, v[2:3]
	v_add_u32_e32 v36, s83, v18
	v_add_co_u32_e64 v39, s[40:41], s78, v37
	v_ashrrev_i32_e32 v37, 31, v36
	v_mov_b32_e32 v3, s79
	v_lshlrev_b64 v[36:37], 1, v[36:37]
	v_addc_co_u32_e64 v40, s[40:41], v3, v38, s[40:41]
	v_mov_b32_e32 v3, s75
	v_add_co_u32_e64 v36, s[40:41], s74, v36
	v_addc_co_u32_e64 v37, s[40:41], v3, v37, s[40:41]
	global_load_ushort v3, v[36:37], off
	s_nop 0
	global_load_ushort v36, v[39:40], off offset:32
	s_waitcnt vmcnt(1)
	v_lshlrev_b32_e32 v3, 16, v3
	s_waitcnt vmcnt(0)
	v_lshlrev_b32_e32 v36, 16, v36
	v_fmac_f32_e32 v34, v36, v3
.LBB54_150:                             ;   in Loop: Header=BB54_9 Depth=2
	s_or_b64 exec, exec, s[80:81]
.LBB54_151:                             ;   in Loop: Header=BB54_9 Depth=2
	s_or_b64 exec, exec, s[54:55]
.LBB54_152:                             ;   in Loop: Header=BB54_9 Depth=2
	s_or_b64 exec, exec, s[52:53]
	s_or_b64 exec, exec, s[50:51]
	s_and_saveexec_b64 s[50:51], s[6:7]
	s_cbranch_execz .LBB54_27
.LBB54_153:                             ;   in Loop: Header=BB54_9 Depth=2
	s_and_saveexec_b64 s[52:53], s[16:17]
	s_cbranch_execz .LBB54_159
; %bb.154:                              ;   in Loop: Header=BB54_9 Depth=2
	s_and_saveexec_b64 s[54:55], s[26:27]
	s_cbranch_execz .LBB54_158
; %bb.155:                              ;   in Loop: Header=BB54_9 Depth=2
	;; [unrolled: 3-line block ×3, first 2 shown]
	v_ashrrev_i32_e32 v3, 31, v2
	v_lshlrev_b64 v[37:38], 1, v[2:3]
	v_add_u32_e32 v36, s83, v17
	v_add_co_u32_e64 v39, s[40:41], s78, v37
	v_ashrrev_i32_e32 v37, 31, v36
	v_mov_b32_e32 v3, s79
	v_lshlrev_b64 v[36:37], 1, v[36:37]
	v_addc_co_u32_e64 v40, s[40:41], v3, v38, s[40:41]
	v_mov_b32_e32 v3, s75
	v_add_co_u32_e64 v36, s[40:41], s74, v36
	v_addc_co_u32_e64 v37, s[40:41], v3, v37, s[40:41]
	global_load_ushort v3, v[36:37], off
	s_nop 0
	global_load_ushort v36, v[39:40], off offset:34
	s_waitcnt vmcnt(1)
	v_lshlrev_b32_e32 v3, 16, v3
	s_waitcnt vmcnt(0)
	v_lshlrev_b32_e32 v36, 16, v36
	v_fmac_f32_e32 v34, v36, v3
.LBB54_157:                             ;   in Loop: Header=BB54_9 Depth=2
	s_or_b64 exec, exec, s[80:81]
.LBB54_158:                             ;   in Loop: Header=BB54_9 Depth=2
	s_or_b64 exec, exec, s[54:55]
.LBB54_159:                             ;   in Loop: Header=BB54_9 Depth=2
	s_or_b64 exec, exec, s[52:53]
	s_or_b64 exec, exec, s[50:51]
	s_and_saveexec_b64 s[50:51], s[6:7]
	s_cbranch_execz .LBB54_28
.LBB54_160:                             ;   in Loop: Header=BB54_9 Depth=2
	s_and_saveexec_b64 s[52:53], s[18:19]
	s_cbranch_execz .LBB54_166
; %bb.161:                              ;   in Loop: Header=BB54_9 Depth=2
	s_and_saveexec_b64 s[54:55], s[26:27]
	s_cbranch_execz .LBB54_165
; %bb.162:                              ;   in Loop: Header=BB54_9 Depth=2
	;; [unrolled: 3-line block ×3, first 2 shown]
	v_ashrrev_i32_e32 v3, 31, v2
	v_lshlrev_b64 v[37:38], 1, v[2:3]
	v_add_u32_e32 v36, s83, v16
	v_add_co_u32_e64 v39, s[40:41], s78, v37
	v_ashrrev_i32_e32 v37, 31, v36
	v_mov_b32_e32 v3, s79
	v_lshlrev_b64 v[36:37], 1, v[36:37]
	v_addc_co_u32_e64 v40, s[40:41], v3, v38, s[40:41]
	v_mov_b32_e32 v3, s75
	v_add_co_u32_e64 v36, s[40:41], s74, v36
	v_addc_co_u32_e64 v37, s[40:41], v3, v37, s[40:41]
	global_load_ushort v3, v[36:37], off
	s_nop 0
	global_load_ushort v36, v[39:40], off offset:36
	s_waitcnt vmcnt(1)
	v_lshlrev_b32_e32 v3, 16, v3
	s_waitcnt vmcnt(0)
	v_lshlrev_b32_e32 v36, 16, v36
	v_fmac_f32_e32 v34, v36, v3
.LBB54_164:                             ;   in Loop: Header=BB54_9 Depth=2
	s_or_b64 exec, exec, s[80:81]
.LBB54_165:                             ;   in Loop: Header=BB54_9 Depth=2
	s_or_b64 exec, exec, s[54:55]
.LBB54_166:                             ;   in Loop: Header=BB54_9 Depth=2
	s_or_b64 exec, exec, s[52:53]
	s_or_b64 exec, exec, s[50:51]
	s_and_saveexec_b64 s[50:51], s[6:7]
	s_cbranch_execz .LBB54_29
.LBB54_167:                             ;   in Loop: Header=BB54_9 Depth=2
	s_and_saveexec_b64 s[52:53], s[20:21]
	s_cbranch_execz .LBB54_173
; %bb.168:                              ;   in Loop: Header=BB54_9 Depth=2
	s_and_saveexec_b64 s[54:55], s[26:27]
	s_cbranch_execz .LBB54_172
; %bb.169:                              ;   in Loop: Header=BB54_9 Depth=2
	;; [unrolled: 3-line block ×3, first 2 shown]
	v_ashrrev_i32_e32 v3, 31, v2
	v_lshlrev_b64 v[37:38], 1, v[2:3]
	v_add_u32_e32 v36, s83, v15
	v_add_co_u32_e64 v39, s[40:41], s78, v37
	v_ashrrev_i32_e32 v37, 31, v36
	v_mov_b32_e32 v3, s79
	v_lshlrev_b64 v[36:37], 1, v[36:37]
	v_addc_co_u32_e64 v40, s[40:41], v3, v38, s[40:41]
	v_mov_b32_e32 v3, s75
	v_add_co_u32_e64 v36, s[40:41], s74, v36
	v_addc_co_u32_e64 v37, s[40:41], v3, v37, s[40:41]
	global_load_ushort v3, v[36:37], off
	s_nop 0
	global_load_ushort v36, v[39:40], off offset:38
	s_waitcnt vmcnt(1)
	v_lshlrev_b32_e32 v3, 16, v3
	s_waitcnt vmcnt(0)
	v_lshlrev_b32_e32 v36, 16, v36
	v_fmac_f32_e32 v34, v36, v3
.LBB54_171:                             ;   in Loop: Header=BB54_9 Depth=2
	s_or_b64 exec, exec, s[80:81]
.LBB54_172:                             ;   in Loop: Header=BB54_9 Depth=2
	s_or_b64 exec, exec, s[54:55]
.LBB54_173:                             ;   in Loop: Header=BB54_9 Depth=2
	s_or_b64 exec, exec, s[52:53]
	s_or_b64 exec, exec, s[50:51]
	s_and_saveexec_b64 s[50:51], s[8:9]
	s_cbranch_execz .LBB54_30
.LBB54_174:                             ;   in Loop: Header=BB54_9 Depth=2
	s_and_saveexec_b64 s[52:53], s[28:29]
	s_cbranch_execz .LBB54_180
; %bb.175:                              ;   in Loop: Header=BB54_9 Depth=2
	s_and_saveexec_b64 s[54:55], s[30:31]
	s_cbranch_execz .LBB54_179
; %bb.176:                              ;   in Loop: Header=BB54_9 Depth=2
	;; [unrolled: 3-line block ×3, first 2 shown]
	v_ashrrev_i32_e32 v3, 31, v2
	v_lshlrev_b64 v[37:38], 1, v[2:3]
	v_add_u32_e32 v36, s83, v14
	v_add_co_u32_e64 v39, s[40:41], s78, v37
	v_ashrrev_i32_e32 v37, 31, v36
	v_mov_b32_e32 v3, s79
	v_lshlrev_b64 v[36:37], 1, v[36:37]
	v_addc_co_u32_e64 v40, s[40:41], v3, v38, s[40:41]
	v_mov_b32_e32 v3, s75
	v_add_co_u32_e64 v36, s[40:41], s74, v36
	v_addc_co_u32_e64 v37, s[40:41], v3, v37, s[40:41]
	global_load_ushort v3, v[36:37], off
	s_nop 0
	global_load_ushort v36, v[39:40], off offset:40
	s_waitcnt vmcnt(1)
	v_lshlrev_b32_e32 v3, 16, v3
	s_waitcnt vmcnt(0)
	v_lshlrev_b32_e32 v36, 16, v36
	v_fmac_f32_e32 v34, v36, v3
.LBB54_178:                             ;   in Loop: Header=BB54_9 Depth=2
	s_or_b64 exec, exec, s[80:81]
.LBB54_179:                             ;   in Loop: Header=BB54_9 Depth=2
	s_or_b64 exec, exec, s[54:55]
.LBB54_180:                             ;   in Loop: Header=BB54_9 Depth=2
	s_or_b64 exec, exec, s[52:53]
	s_or_b64 exec, exec, s[50:51]
	s_and_saveexec_b64 s[50:51], s[8:9]
	s_cbranch_execz .LBB54_31
.LBB54_181:                             ;   in Loop: Header=BB54_9 Depth=2
	s_and_saveexec_b64 s[52:53], s[34:35]
	s_cbranch_execz .LBB54_187
; %bb.182:                              ;   in Loop: Header=BB54_9 Depth=2
	s_and_saveexec_b64 s[54:55], s[30:31]
	s_cbranch_execz .LBB54_186
; %bb.183:                              ;   in Loop: Header=BB54_9 Depth=2
	;; [unrolled: 3-line block ×3, first 2 shown]
	v_ashrrev_i32_e32 v3, 31, v2
	v_lshlrev_b64 v[37:38], 1, v[2:3]
	v_add_u32_e32 v36, s83, v13
	v_add_co_u32_e64 v39, s[40:41], s78, v37
	v_ashrrev_i32_e32 v37, 31, v36
	v_mov_b32_e32 v3, s79
	v_lshlrev_b64 v[36:37], 1, v[36:37]
	v_addc_co_u32_e64 v40, s[40:41], v3, v38, s[40:41]
	v_mov_b32_e32 v3, s75
	v_add_co_u32_e64 v36, s[40:41], s74, v36
	v_addc_co_u32_e64 v37, s[40:41], v3, v37, s[40:41]
	global_load_ushort v3, v[36:37], off
	s_nop 0
	global_load_ushort v36, v[39:40], off offset:42
	s_waitcnt vmcnt(1)
	v_lshlrev_b32_e32 v3, 16, v3
	s_waitcnt vmcnt(0)
	v_lshlrev_b32_e32 v36, 16, v36
	v_fmac_f32_e32 v34, v36, v3
.LBB54_185:                             ;   in Loop: Header=BB54_9 Depth=2
	s_or_b64 exec, exec, s[80:81]
.LBB54_186:                             ;   in Loop: Header=BB54_9 Depth=2
	s_or_b64 exec, exec, s[54:55]
.LBB54_187:                             ;   in Loop: Header=BB54_9 Depth=2
	s_or_b64 exec, exec, s[52:53]
	s_or_b64 exec, exec, s[50:51]
	s_and_saveexec_b64 s[50:51], s[8:9]
	s_cbranch_execz .LBB54_32
.LBB54_188:                             ;   in Loop: Header=BB54_9 Depth=2
	s_and_saveexec_b64 s[52:53], s[36:37]
	s_cbranch_execz .LBB54_194
; %bb.189:                              ;   in Loop: Header=BB54_9 Depth=2
	s_and_saveexec_b64 s[54:55], s[30:31]
	s_cbranch_execz .LBB54_193
; %bb.190:                              ;   in Loop: Header=BB54_9 Depth=2
	;; [unrolled: 3-line block ×3, first 2 shown]
	v_ashrrev_i32_e32 v3, 31, v2
	v_lshlrev_b64 v[37:38], 1, v[2:3]
	v_add_u32_e32 v36, s83, v12
	v_add_co_u32_e64 v39, s[40:41], s78, v37
	v_ashrrev_i32_e32 v37, 31, v36
	v_mov_b32_e32 v3, s79
	v_lshlrev_b64 v[36:37], 1, v[36:37]
	v_addc_co_u32_e64 v40, s[40:41], v3, v38, s[40:41]
	v_mov_b32_e32 v3, s75
	v_add_co_u32_e64 v36, s[40:41], s74, v36
	v_addc_co_u32_e64 v37, s[40:41], v3, v37, s[40:41]
	global_load_ushort v3, v[36:37], off
	s_nop 0
	global_load_ushort v36, v[39:40], off offset:44
	s_waitcnt vmcnt(1)
	v_lshlrev_b32_e32 v3, 16, v3
	s_waitcnt vmcnt(0)
	v_lshlrev_b32_e32 v36, 16, v36
	v_fmac_f32_e32 v34, v36, v3
.LBB54_192:                             ;   in Loop: Header=BB54_9 Depth=2
	s_or_b64 exec, exec, s[80:81]
.LBB54_193:                             ;   in Loop: Header=BB54_9 Depth=2
	s_or_b64 exec, exec, s[54:55]
.LBB54_194:                             ;   in Loop: Header=BB54_9 Depth=2
	s_or_b64 exec, exec, s[52:53]
	s_or_b64 exec, exec, s[50:51]
	s_and_saveexec_b64 s[50:51], s[8:9]
	s_cbranch_execz .LBB54_33
.LBB54_195:                             ;   in Loop: Header=BB54_9 Depth=2
	s_and_saveexec_b64 s[52:53], s[38:39]
	s_cbranch_execz .LBB54_201
; %bb.196:                              ;   in Loop: Header=BB54_9 Depth=2
	s_and_saveexec_b64 s[54:55], s[30:31]
	s_cbranch_execz .LBB54_200
; %bb.197:                              ;   in Loop: Header=BB54_9 Depth=2
	s_and_saveexec_b64 s[80:81], s[44:45]
	s_cbranch_execz .LBB54_199
; %bb.198:                              ;   in Loop: Header=BB54_9 Depth=2
	v_ashrrev_i32_e32 v3, 31, v2
	v_lshlrev_b64 v[37:38], 1, v[2:3]
	v_add_u32_e32 v36, s83, v11
	v_add_co_u32_e64 v39, s[40:41], s78, v37
	v_ashrrev_i32_e32 v37, 31, v36
	v_mov_b32_e32 v3, s79
	v_lshlrev_b64 v[36:37], 1, v[36:37]
	v_addc_co_u32_e64 v40, s[40:41], v3, v38, s[40:41]
	v_mov_b32_e32 v3, s75
	v_add_co_u32_e64 v36, s[40:41], s74, v36
	v_addc_co_u32_e64 v37, s[40:41], v3, v37, s[40:41]
	global_load_ushort v3, v[36:37], off
	s_nop 0
	global_load_ushort v36, v[39:40], off offset:46
	s_waitcnt vmcnt(1)
	v_lshlrev_b32_e32 v3, 16, v3
	s_waitcnt vmcnt(0)
	v_lshlrev_b32_e32 v36, 16, v36
	v_fmac_f32_e32 v34, v36, v3
.LBB54_199:                             ;   in Loop: Header=BB54_9 Depth=2
	s_or_b64 exec, exec, s[80:81]
.LBB54_200:                             ;   in Loop: Header=BB54_9 Depth=2
	s_or_b64 exec, exec, s[54:55]
.LBB54_201:                             ;   in Loop: Header=BB54_9 Depth=2
	s_or_b64 exec, exec, s[52:53]
	s_or_b64 exec, exec, s[50:51]
	s_and_saveexec_b64 s[50:51], s[8:9]
	s_cbranch_execz .LBB54_8
.LBB54_202:                             ;   in Loop: Header=BB54_9 Depth=2
	s_and_saveexec_b64 s[52:53], s[46:47]
	s_cbranch_execz .LBB54_7
; %bb.203:                              ;   in Loop: Header=BB54_9 Depth=2
	s_and_saveexec_b64 s[54:55], s[48:49]
	s_cbranch_execz .LBB54_6
; %bb.204:                              ;   in Loop: Header=BB54_9 Depth=2
	v_ashrrev_i32_e32 v3, 31, v2
	v_lshlrev_b64 v[37:38], 1, v[2:3]
	v_add_u32_e32 v36, s83, v10
	v_add_co_u32_e64 v39, s[40:41], s78, v37
	v_ashrrev_i32_e32 v37, 31, v36
	v_mov_b32_e32 v3, s79
	v_lshlrev_b64 v[36:37], 1, v[36:37]
	v_addc_co_u32_e64 v40, s[40:41], v3, v38, s[40:41]
	v_mov_b32_e32 v3, s75
	v_add_co_u32_e64 v36, s[40:41], s74, v36
	v_addc_co_u32_e64 v37, s[40:41], v3, v37, s[40:41]
	global_load_ushort v3, v[36:37], off
	s_nop 0
	global_load_ushort v36, v[39:40], off offset:48
	s_waitcnt vmcnt(1)
	v_lshlrev_b32_e32 v3, 16, v3
	s_waitcnt vmcnt(0)
	v_lshlrev_b32_e32 v36, 16, v36
	v_fmac_f32_e32 v34, v36, v3
	s_branch .LBB54_6
.LBB54_205:
	s_endpgm
	.section	.rodata,"a",@progbits
	.p2align	6, 0x0
	.amdhsa_kernel _ZN2at6native12_GLOBAL__N_132conv_depthwise2d_backward_kernelILi5ELi0EN3c108BFloat16EiEEvN5torch10headeronly6detail27GenericPackedTensorAccessorINS7_14TensorAccessorINS3_8ArrayRefIlEEKT1_Lm3ENS6_16DefaultPtrTraitsEiEENS_6detail16IndexBoundsCheckILm4EiEESD_Lm4ESE_iEENS8_INS9_ISB_SC_Lm3ESE_iEESI_SC_Lm4ESE_iEESJ_T2_iiiiiiiiiiiiiii
		.amdhsa_group_segment_fixed_size 0
		.amdhsa_private_segment_fixed_size 0
		.amdhsa_kernarg_size 440
		.amdhsa_user_sgpr_count 6
		.amdhsa_user_sgpr_private_segment_buffer 1
		.amdhsa_user_sgpr_dispatch_ptr 0
		.amdhsa_user_sgpr_queue_ptr 0
		.amdhsa_user_sgpr_kernarg_segment_ptr 1
		.amdhsa_user_sgpr_dispatch_id 0
		.amdhsa_user_sgpr_flat_scratch_init 0
		.amdhsa_user_sgpr_private_segment_size 0
		.amdhsa_uses_dynamic_stack 0
		.amdhsa_system_sgpr_private_segment_wavefront_offset 0
		.amdhsa_system_sgpr_workgroup_id_x 1
		.amdhsa_system_sgpr_workgroup_id_y 0
		.amdhsa_system_sgpr_workgroup_id_z 0
		.amdhsa_system_sgpr_workgroup_info 0
		.amdhsa_system_vgpr_workitem_id 0
		.amdhsa_next_free_vgpr 46
		.amdhsa_next_free_sgpr 96
		.amdhsa_reserve_vcc 1
		.amdhsa_reserve_flat_scratch 0
		.amdhsa_float_round_mode_32 0
		.amdhsa_float_round_mode_16_64 0
		.amdhsa_float_denorm_mode_32 3
		.amdhsa_float_denorm_mode_16_64 3
		.amdhsa_dx10_clamp 1
		.amdhsa_ieee_mode 1
		.amdhsa_fp16_overflow 0
		.amdhsa_exception_fp_ieee_invalid_op 0
		.amdhsa_exception_fp_denorm_src 0
		.amdhsa_exception_fp_ieee_div_zero 0
		.amdhsa_exception_fp_ieee_overflow 0
		.amdhsa_exception_fp_ieee_underflow 0
		.amdhsa_exception_fp_ieee_inexact 0
		.amdhsa_exception_int_div_zero 0
	.end_amdhsa_kernel
	.section	.text._ZN2at6native12_GLOBAL__N_132conv_depthwise2d_backward_kernelILi5ELi0EN3c108BFloat16EiEEvN5torch10headeronly6detail27GenericPackedTensorAccessorINS7_14TensorAccessorINS3_8ArrayRefIlEEKT1_Lm3ENS6_16DefaultPtrTraitsEiEENS_6detail16IndexBoundsCheckILm4EiEESD_Lm4ESE_iEENS8_INS9_ISB_SC_Lm3ESE_iEESI_SC_Lm4ESE_iEESJ_T2_iiiiiiiiiiiiiii,"axG",@progbits,_ZN2at6native12_GLOBAL__N_132conv_depthwise2d_backward_kernelILi5ELi0EN3c108BFloat16EiEEvN5torch10headeronly6detail27GenericPackedTensorAccessorINS7_14TensorAccessorINS3_8ArrayRefIlEEKT1_Lm3ENS6_16DefaultPtrTraitsEiEENS_6detail16IndexBoundsCheckILm4EiEESD_Lm4ESE_iEENS8_INS9_ISB_SC_Lm3ESE_iEESI_SC_Lm4ESE_iEESJ_T2_iiiiiiiiiiiiiii,comdat
.Lfunc_end54:
	.size	_ZN2at6native12_GLOBAL__N_132conv_depthwise2d_backward_kernelILi5ELi0EN3c108BFloat16EiEEvN5torch10headeronly6detail27GenericPackedTensorAccessorINS7_14TensorAccessorINS3_8ArrayRefIlEEKT1_Lm3ENS6_16DefaultPtrTraitsEiEENS_6detail16IndexBoundsCheckILm4EiEESD_Lm4ESE_iEENS8_INS9_ISB_SC_Lm3ESE_iEESI_SC_Lm4ESE_iEESJ_T2_iiiiiiiiiiiiiii, .Lfunc_end54-_ZN2at6native12_GLOBAL__N_132conv_depthwise2d_backward_kernelILi5ELi0EN3c108BFloat16EiEEvN5torch10headeronly6detail27GenericPackedTensorAccessorINS7_14TensorAccessorINS3_8ArrayRefIlEEKT1_Lm3ENS6_16DefaultPtrTraitsEiEENS_6detail16IndexBoundsCheckILm4EiEESD_Lm4ESE_iEENS8_INS9_ISB_SC_Lm3ESE_iEESI_SC_Lm4ESE_iEESJ_T2_iiiiiiiiiiiiiii
                                        ; -- End function
	.set _ZN2at6native12_GLOBAL__N_132conv_depthwise2d_backward_kernelILi5ELi0EN3c108BFloat16EiEEvN5torch10headeronly6detail27GenericPackedTensorAccessorINS7_14TensorAccessorINS3_8ArrayRefIlEEKT1_Lm3ENS6_16DefaultPtrTraitsEiEENS_6detail16IndexBoundsCheckILm4EiEESD_Lm4ESE_iEENS8_INS9_ISB_SC_Lm3ESE_iEESI_SC_Lm4ESE_iEESJ_T2_iiiiiiiiiiiiiii.num_vgpr, 46
	.set _ZN2at6native12_GLOBAL__N_132conv_depthwise2d_backward_kernelILi5ELi0EN3c108BFloat16EiEEvN5torch10headeronly6detail27GenericPackedTensorAccessorINS7_14TensorAccessorINS3_8ArrayRefIlEEKT1_Lm3ENS6_16DefaultPtrTraitsEiEENS_6detail16IndexBoundsCheckILm4EiEESD_Lm4ESE_iEENS8_INS9_ISB_SC_Lm3ESE_iEESI_SC_Lm4ESE_iEESJ_T2_iiiiiiiiiiiiiii.num_agpr, 0
	.set _ZN2at6native12_GLOBAL__N_132conv_depthwise2d_backward_kernelILi5ELi0EN3c108BFloat16EiEEvN5torch10headeronly6detail27GenericPackedTensorAccessorINS7_14TensorAccessorINS3_8ArrayRefIlEEKT1_Lm3ENS6_16DefaultPtrTraitsEiEENS_6detail16IndexBoundsCheckILm4EiEESD_Lm4ESE_iEENS8_INS9_ISB_SC_Lm3ESE_iEESI_SC_Lm4ESE_iEESJ_T2_iiiiiiiiiiiiiii.numbered_sgpr, 96
	.set _ZN2at6native12_GLOBAL__N_132conv_depthwise2d_backward_kernelILi5ELi0EN3c108BFloat16EiEEvN5torch10headeronly6detail27GenericPackedTensorAccessorINS7_14TensorAccessorINS3_8ArrayRefIlEEKT1_Lm3ENS6_16DefaultPtrTraitsEiEENS_6detail16IndexBoundsCheckILm4EiEESD_Lm4ESE_iEENS8_INS9_ISB_SC_Lm3ESE_iEESI_SC_Lm4ESE_iEESJ_T2_iiiiiiiiiiiiiii.num_named_barrier, 0
	.set _ZN2at6native12_GLOBAL__N_132conv_depthwise2d_backward_kernelILi5ELi0EN3c108BFloat16EiEEvN5torch10headeronly6detail27GenericPackedTensorAccessorINS7_14TensorAccessorINS3_8ArrayRefIlEEKT1_Lm3ENS6_16DefaultPtrTraitsEiEENS_6detail16IndexBoundsCheckILm4EiEESD_Lm4ESE_iEENS8_INS9_ISB_SC_Lm3ESE_iEESI_SC_Lm4ESE_iEESJ_T2_iiiiiiiiiiiiiii.private_seg_size, 0
	.set _ZN2at6native12_GLOBAL__N_132conv_depthwise2d_backward_kernelILi5ELi0EN3c108BFloat16EiEEvN5torch10headeronly6detail27GenericPackedTensorAccessorINS7_14TensorAccessorINS3_8ArrayRefIlEEKT1_Lm3ENS6_16DefaultPtrTraitsEiEENS_6detail16IndexBoundsCheckILm4EiEESD_Lm4ESE_iEENS8_INS9_ISB_SC_Lm3ESE_iEESI_SC_Lm4ESE_iEESJ_T2_iiiiiiiiiiiiiii.uses_vcc, 1
	.set _ZN2at6native12_GLOBAL__N_132conv_depthwise2d_backward_kernelILi5ELi0EN3c108BFloat16EiEEvN5torch10headeronly6detail27GenericPackedTensorAccessorINS7_14TensorAccessorINS3_8ArrayRefIlEEKT1_Lm3ENS6_16DefaultPtrTraitsEiEENS_6detail16IndexBoundsCheckILm4EiEESD_Lm4ESE_iEENS8_INS9_ISB_SC_Lm3ESE_iEESI_SC_Lm4ESE_iEESJ_T2_iiiiiiiiiiiiiii.uses_flat_scratch, 0
	.set _ZN2at6native12_GLOBAL__N_132conv_depthwise2d_backward_kernelILi5ELi0EN3c108BFloat16EiEEvN5torch10headeronly6detail27GenericPackedTensorAccessorINS7_14TensorAccessorINS3_8ArrayRefIlEEKT1_Lm3ENS6_16DefaultPtrTraitsEiEENS_6detail16IndexBoundsCheckILm4EiEESD_Lm4ESE_iEENS8_INS9_ISB_SC_Lm3ESE_iEESI_SC_Lm4ESE_iEESJ_T2_iiiiiiiiiiiiiii.has_dyn_sized_stack, 0
	.set _ZN2at6native12_GLOBAL__N_132conv_depthwise2d_backward_kernelILi5ELi0EN3c108BFloat16EiEEvN5torch10headeronly6detail27GenericPackedTensorAccessorINS7_14TensorAccessorINS3_8ArrayRefIlEEKT1_Lm3ENS6_16DefaultPtrTraitsEiEENS_6detail16IndexBoundsCheckILm4EiEESD_Lm4ESE_iEENS8_INS9_ISB_SC_Lm3ESE_iEESI_SC_Lm4ESE_iEESJ_T2_iiiiiiiiiiiiiii.has_recursion, 0
	.set _ZN2at6native12_GLOBAL__N_132conv_depthwise2d_backward_kernelILi5ELi0EN3c108BFloat16EiEEvN5torch10headeronly6detail27GenericPackedTensorAccessorINS7_14TensorAccessorINS3_8ArrayRefIlEEKT1_Lm3ENS6_16DefaultPtrTraitsEiEENS_6detail16IndexBoundsCheckILm4EiEESD_Lm4ESE_iEENS8_INS9_ISB_SC_Lm3ESE_iEESI_SC_Lm4ESE_iEESJ_T2_iiiiiiiiiiiiiii.has_indirect_call, 0
	.section	.AMDGPU.csdata,"",@progbits
; Kernel info:
; codeLenInByte = 7768
; TotalNumSgprs: 100
; NumVgprs: 46
; ScratchSize: 0
; MemoryBound: 0
; FloatMode: 240
; IeeeMode: 1
; LDSByteSize: 0 bytes/workgroup (compile time only)
; SGPRBlocks: 12
; VGPRBlocks: 11
; NumSGPRsForWavesPerEU: 100
; NumVGPRsForWavesPerEU: 46
; Occupancy: 5
; WaveLimiterHint : 0
; COMPUTE_PGM_RSRC2:SCRATCH_EN: 0
; COMPUTE_PGM_RSRC2:USER_SGPR: 6
; COMPUTE_PGM_RSRC2:TRAP_HANDLER: 0
; COMPUTE_PGM_RSRC2:TGID_X_EN: 1
; COMPUTE_PGM_RSRC2:TGID_Y_EN: 0
; COMPUTE_PGM_RSRC2:TGID_Z_EN: 0
; COMPUTE_PGM_RSRC2:TIDIG_COMP_CNT: 0
	.section	.text._ZN2at6native12_GLOBAL__N_132conv_depthwise2d_backward_kernelILi3ELi1EN3c108BFloat16EiEEvN5torch10headeronly6detail27GenericPackedTensorAccessorINS7_14TensorAccessorINS3_8ArrayRefIlEEKT1_Lm3ENS6_16DefaultPtrTraitsEiEENS_6detail16IndexBoundsCheckILm4EiEESD_Lm4ESE_iEENS8_INS9_ISB_SC_Lm3ESE_iEESI_SC_Lm4ESE_iEESJ_T2_iiiiiiiiiiiiiii,"axG",@progbits,_ZN2at6native12_GLOBAL__N_132conv_depthwise2d_backward_kernelILi3ELi1EN3c108BFloat16EiEEvN5torch10headeronly6detail27GenericPackedTensorAccessorINS7_14TensorAccessorINS3_8ArrayRefIlEEKT1_Lm3ENS6_16DefaultPtrTraitsEiEENS_6detail16IndexBoundsCheckILm4EiEESD_Lm4ESE_iEENS8_INS9_ISB_SC_Lm3ESE_iEESI_SC_Lm4ESE_iEESJ_T2_iiiiiiiiiiiiiii,comdat
	.globl	_ZN2at6native12_GLOBAL__N_132conv_depthwise2d_backward_kernelILi3ELi1EN3c108BFloat16EiEEvN5torch10headeronly6detail27GenericPackedTensorAccessorINS7_14TensorAccessorINS3_8ArrayRefIlEEKT1_Lm3ENS6_16DefaultPtrTraitsEiEENS_6detail16IndexBoundsCheckILm4EiEESD_Lm4ESE_iEENS8_INS9_ISB_SC_Lm3ESE_iEESI_SC_Lm4ESE_iEESJ_T2_iiiiiiiiiiiiiii ; -- Begin function _ZN2at6native12_GLOBAL__N_132conv_depthwise2d_backward_kernelILi3ELi1EN3c108BFloat16EiEEvN5torch10headeronly6detail27GenericPackedTensorAccessorINS7_14TensorAccessorINS3_8ArrayRefIlEEKT1_Lm3ENS6_16DefaultPtrTraitsEiEENS_6detail16IndexBoundsCheckILm4EiEESD_Lm4ESE_iEENS8_INS9_ISB_SC_Lm3ESE_iEESI_SC_Lm4ESE_iEESJ_T2_iiiiiiiiiiiiiii
	.p2align	8
	.type	_ZN2at6native12_GLOBAL__N_132conv_depthwise2d_backward_kernelILi3ELi1EN3c108BFloat16EiEEvN5torch10headeronly6detail27GenericPackedTensorAccessorINS7_14TensorAccessorINS3_8ArrayRefIlEEKT1_Lm3ENS6_16DefaultPtrTraitsEiEENS_6detail16IndexBoundsCheckILm4EiEESD_Lm4ESE_iEENS8_INS9_ISB_SC_Lm3ESE_iEESI_SC_Lm4ESE_iEESJ_T2_iiiiiiiiiiiiiii,@function
_ZN2at6native12_GLOBAL__N_132conv_depthwise2d_backward_kernelILi3ELi1EN3c108BFloat16EiEEvN5torch10headeronly6detail27GenericPackedTensorAccessorINS7_14TensorAccessorINS3_8ArrayRefIlEEKT1_Lm3ENS6_16DefaultPtrTraitsEiEENS_6detail16IndexBoundsCheckILm4EiEESD_Lm4ESE_iEENS8_INS9_ISB_SC_Lm3ESE_iEESI_SC_Lm4ESE_iEESJ_T2_iiiiiiiiiiiiiii: ; @_ZN2at6native12_GLOBAL__N_132conv_depthwise2d_backward_kernelILi3ELi1EN3c108BFloat16EiEEvN5torch10headeronly6detail27GenericPackedTensorAccessorINS7_14TensorAccessorINS3_8ArrayRefIlEEKT1_Lm3ENS6_16DefaultPtrTraitsEiEENS_6detail16IndexBoundsCheckILm4EiEESD_Lm4ESE_iEENS8_INS9_ISB_SC_Lm3ESE_iEESI_SC_Lm4ESE_iEESJ_T2_iiiiiiiiiiiiiii
; %bb.0:
	s_load_dword s2, s[4:5], 0xc4
	s_load_dwordx8 s[8:15], s[4:5], 0x78
	s_add_u32 s0, s4, 0xb8
	s_addc_u32 s1, s5, 0
	v_mov_b32_e32 v1, 0
	s_waitcnt lgkmcnt(0)
	s_and_b32 s2, s2, 0xffff
	v_mov_b32_e32 v2, s6
	v_mad_u64_u32 v[1:2], s[16:17], s2, v2, v[0:1]
	s_ashr_i32 s21, s8, 31
	s_mov_b32 s20, s8
	v_cmp_gt_i64_e32 vcc, s[20:21], v[1:2]
	s_and_saveexec_b64 s[16:17], vcc
	s_cbranch_execz .LBB55_25
; %bb.1:
	s_cmp_gt_i32 s10, 0
	s_cselect_b64 s[30:31], -1, 0
	s_abs_i32 s8, s12
	v_cvt_f32_u32_e32 v3, s8
	s_abs_i32 s33, s13
	v_cvt_f32_u32_e32 v4, s33
	s_abs_i32 s46, s9
	v_rcp_iflag_f32_e32 v3, v3
	v_cvt_f32_u32_e32 v5, s46
	v_rcp_iflag_f32_e32 v4, v4
	s_load_dwordx2 s[28:29], s[4:5], 0x98
	s_load_dwordx2 s[22:23], s[4:5], 0x0
	;; [unrolled: 1-line block ×4, first 2 shown]
	s_load_dword s3, s[0:1], 0x0
	v_mul_f32_e32 v3, 0x4f7ffffe, v3
	v_rcp_iflag_f32_e32 v5, v5
	v_cvt_u32_f32_e32 v3, v3
	v_mul_f32_e32 v4, 0x4f7ffffe, v4
	s_sub_i32 s0, 0, s8
	v_cvt_u32_f32_e32 v4, v4
	v_mul_f32_e32 v5, 0x4f7ffffe, v5
	v_mul_lo_u32 v6, s0, v3
	v_cvt_u32_f32_e32 v7, v5
	s_sub_i32 s0, 0, s33
	v_mul_lo_u32 v5, s0, v4
	s_sub_i32 s0, 0, s46
	v_mul_hi_u32 v6, v3, v6
	v_mul_lo_u32 v8, s0, v7
	s_load_dwordx4 s[16:19], s[4:5], 0xa8
	v_mul_hi_u32 v9, v4, v5
	v_add_u32_e32 v5, v3, v6
	v_mul_hi_u32 v3, v7, v8
	s_mul_i32 s0, s6, s2
	s_waitcnt lgkmcnt(0)
	s_add_i32 s0, s0, s16
	v_add_u32_e32 v0, s0, v0
	s_lshl_b32 s0, s18, 1
	v_add_u32_e32 v7, v7, v3
	s_mul_i32 s51, s29, s28
	v_subrev_u32_e32 v8, s0, v0
	s_lshl_b32 s0, s19, 1
	v_cndmask_b32_e64 v3, 0, 1, s[30:31]
	s_mul_i32 s47, s3, s2
	s_ashr_i32 s48, s12, 31
	s_ashr_i32 s49, s13, 31
	v_add_u32_e32 v6, v4, v9
	s_ashr_i32 s50, s9, 31
	s_mul_i32 s52, s51, s10
	s_sub_i32 s53, 0, s12
	s_sub_i32 s54, s17, s0
	s_mul_i32 s55, s15, s14
	v_subrev_u32_e32 v9, s18, v0
	s_sub_i32 s56, s17, s19
	s_mov_b64 s[28:29], 0
	v_cmp_ne_u32_e64 s[0:1], 1, v3
	s_movk_i32 s57, 0x7fff
	v_mov_b32_e32 v10, 0x7fc0
	s_branch .LBB55_4
.LBB55_2:                               ;   in Loop: Header=BB55_4 Depth=1
	v_mov_b32_e32 v21, 0
.LBB55_3:                               ;   in Loop: Header=BB55_4 Depth=1
	v_bfe_u32 v3, v21, 16, 1
	v_add3_u32 v3, v21, v3, s57
	v_cmp_o_f32_e32 vcc, v21, v21
	v_cndmask_b32_sdwa v11, v10, v3, vcc dst_sel:DWORD dst_unused:UNUSED_PAD src0_sel:DWORD src1_sel:WORD_1
	v_lshlrev_b64 v[3:4], 1, v[1:2]
	v_mov_b32_e32 v12, s25
	v_add_co_u32_e32 v3, vcc, s24, v3
	v_addc_co_u32_e32 v4, vcc, v12, v4, vcc
	v_add_co_u32_e32 v1, vcc, s47, v1
	v_addc_co_u32_e32 v2, vcc, 0, v2, vcc
	v_cmp_le_i64_e32 vcc, s[20:21], v[1:2]
	v_add_u32_e32 v8, s47, v8
	v_add_u32_e32 v9, s47, v9
	s_or_b64 s[28:29], vcc, s[28:29]
	v_add_u32_e32 v0, s47, v0
	global_store_short v[3:4], v11, off
	s_andn2_b64 exec, exec, s[28:29]
	s_cbranch_execz .LBB55_25
.LBB55_4:                               ; =>This Loop Header: Depth=1
                                        ;     Child Loop BB55_7 Depth 2
	s_and_b64 vcc, exec, s[0:1]
	s_cbranch_vccnz .LBB55_2
; %bb.5:                                ;   in Loop: Header=BB55_4 Depth=1
	v_sub_u32_e32 v3, 0, v1
	v_max_i32_e32 v3, v1, v3
	v_mul_hi_u32 v11, v3, v5
	v_ashrrev_i32_e32 v4, 31, v1
	v_xor_b32_e32 v4, s48, v4
	v_add_u32_e32 v18, s16, v1
	v_mul_lo_u32 v12, v11, s8
	v_add_u32_e32 v13, 1, v11
	v_mov_b32_e32 v21, 0
	v_sub_u32_e32 v3, v3, v12
	v_cmp_le_u32_e32 vcc, s8, v3
	v_subrev_u32_e32 v12, s8, v3
	v_cndmask_b32_e32 v11, v11, v13, vcc
	v_cndmask_b32_e32 v3, v3, v12, vcc
	v_add_u32_e32 v12, 1, v11
	v_cmp_le_u32_e32 vcc, s8, v3
	v_cndmask_b32_e32 v3, v11, v12, vcc
	v_xor_b32_e32 v15, v3, v4
	v_sub_u32_e32 v13, v15, v4
	v_sub_u32_e32 v3, 0, v13
	v_max_i32_e32 v3, v13, v3
	v_mul_hi_u32 v11, v3, v6
	v_ashrrev_i32_e32 v14, 31, v13
	v_xor_b32_e32 v14, s49, v14
	v_mul_lo_u32 v12, v11, s33
	v_add_u32_e32 v16, 1, v11
	v_sub_u32_e32 v3, v3, v12
	v_cmp_le_u32_e32 vcc, s33, v3
	v_subrev_u32_e32 v12, s33, v3
	v_cndmask_b32_e32 v11, v11, v16, vcc
	v_cndmask_b32_e32 v3, v3, v12, vcc
	v_add_u32_e32 v12, 1, v11
	v_cmp_le_u32_e32 vcc, s33, v3
	v_cndmask_b32_e32 v3, v11, v12, vcc
	v_xor_b32_e32 v3, v3, v14
	v_sub_u32_e32 v3, v3, v14
	v_sub_u32_e32 v11, 0, v3
	v_max_i32_e32 v11, v3, v11
	v_mul_hi_u32 v12, v11, v7
	v_ashrrev_i32_e32 v16, 31, v3
	v_xor_b32_e32 v16, s50, v16
	v_mul_lo_u32 v14, v12, s46
	v_add_u32_e32 v17, 1, v12
	v_sub_u32_e32 v11, v11, v14
	v_cmp_le_u32_e32 vcc, s46, v11
	v_subrev_u32_e32 v14, s46, v11
	v_cndmask_b32_e32 v12, v12, v17, vcc
	v_cndmask_b32_e32 v11, v11, v14, vcc
	v_add_u32_e32 v14, 1, v12
	v_cmp_le_u32_e32 vcc, s46, v11
	v_cndmask_b32_e32 v11, v12, v14, vcc
	v_xor_b32_e32 v11, v11, v16
	v_sub_u32_e32 v11, v11, v16
	v_mul_lo_u32 v12, v11, s9
	v_mul_lo_u32 v16, v3, s13
	;; [unrolled: 1-line block ×3, first 2 shown]
	v_sub_u32_e32 v14, v3, v12
	v_add_u32_e32 v12, s17, v13
	v_mul_lo_u32 v3, v11, s11
	v_sub_u32_e32 v11, v12, v16
	v_cmp_gt_i32_e32 vcc, 0, v11
	v_cmp_gt_i32_e64 s[2:3], s15, v11
	v_sub_u32_e32 v11, v18, v17
	v_cmp_lt_i32_e64 s[4:5], -1, v11
	v_cmp_gt_i32_e64 s[6:7], s14, v11
	v_add_u32_e32 v11, s18, v17
	v_sub_u32_e32 v17, v18, v11
	v_add_u32_e32 v11, s18, v11
	s_and_b64 s[30:31], s[4:5], s[6:7]
	v_cmp_lt_i32_e64 s[4:5], -1, v17
	v_cmp_gt_i32_e64 s[6:7], s14, v17
	v_sub_u32_e32 v11, v18, v11
	s_and_b64 s[36:37], s[4:5], s[6:7]
	v_cmp_lt_i32_e64 s[4:5], -1, v11
	v_cmp_gt_i32_e64 s[6:7], s14, v11
	v_add_u32_e32 v11, s19, v16
	v_sub_u32_e32 v17, v12, v11
	v_add_u32_e32 v11, s19, v11
	s_and_b64 s[40:41], s[4:5], s[6:7]
	v_sub_u32_e32 v11, v12, v11
	s_and_b64 s[34:35], s[2:3], s[30:31]
	s_and_b64 s[42:43], s[2:3], s[40:41]
	v_cmp_gt_i32_e64 s[4:5], s15, v17
	v_cmp_gt_i32_e64 s[6:7], s15, v11
	s_and_b64 s[44:45], s[4:5], s[30:31]
	s_and_b64 s[58:59], s[4:5], s[36:37]
	;; [unrolled: 1-line block ×3, first 2 shown]
	v_cmp_gt_i32_e64 s[4:5], 0, v11
	s_and_b64 s[62:63], s[6:7], s[30:31]
	s_and_b64 s[64:65], s[6:7], s[36:37]
	;; [unrolled: 1-line block ×3, first 2 shown]
	s_xor_b64 s[6:7], s[34:35], -1
	s_xor_b64 s[34:35], s[42:43], -1
	v_mad_u64_u32 v[11:12], s[42:43], v14, s10, v[3:4]
	s_and_b64 s[38:39], s[2:3], s[36:37]
	v_cmp_gt_i32_e64 s[2:3], 0, v17
	v_mul_lo_u32 v17, s15, v11
	v_mul_lo_u32 v11, s53, v13
	s_xor_b64 s[30:31], s[38:39], -1
	s_xor_b64 s[36:37], s[44:45], -1
	v_add3_u32 v3, s54, v15, v17
	v_sub_u32_e32 v3, v3, v16
	v_sub_u32_e32 v3, v3, v4
	v_mul_lo_u32 v18, s14, v3
	v_mul_lo_u32 v3, s52, v14
	s_xor_b64 s[38:39], s[58:59], -1
	s_xor_b64 s[40:41], s[60:61], -1
	v_add_u32_e32 v12, v8, v18
	v_add_u32_e32 v13, v9, v18
	v_add_u32_e32 v14, v0, v18
	v_add3_u32 v18, s56, v15, v17
	v_add3_u32 v15, s17, v15, v17
	v_sub_u32_e32 v18, v18, v16
	v_sub_u32_e32 v15, v15, v16
	;; [unrolled: 1-line block ×4, first 2 shown]
	v_mul_lo_u32 v18, s14, v18
	v_mul_lo_u32 v4, s14, v4
	s_nor_b64 s[36:37], s[2:3], s[36:37]
	s_nor_b64 s[38:39], s[2:3], s[38:39]
	s_nor_b64 s[2:3], s[2:3], s[40:41]
	s_xor_b64 s[40:41], s[62:63], -1
	s_xor_b64 s[42:43], s[64:65], -1
	;; [unrolled: 1-line block ×3, first 2 shown]
	s_nor_b64 s[6:7], vcc, s[6:7]
	s_nor_b64 s[30:31], vcc, s[30:31]
	;; [unrolled: 1-line block ×3, first 2 shown]
	s_nor_b64 s[40:41], s[4:5], s[40:41]
	s_nor_b64 s[42:43], s[4:5], s[42:43]
	s_nor_b64 s[4:5], s[4:5], s[44:45]
	v_add_u32_e32 v15, v8, v18
	v_add_u32_e32 v16, v9, v18
	v_add_u32_e32 v17, v0, v18
	v_add_u32_e32 v18, v8, v4
	v_add_u32_e32 v19, v9, v4
	v_add_u32_e32 v20, v0, v4
	s_mov_b32 s58, s10
	s_branch .LBB55_7
.LBB55_6:                               ;   in Loop: Header=BB55_7 Depth=2
	s_or_b64 exec, exec, s[44:45]
	s_add_i32 s58, s58, -1
	v_add_u32_e32 v3, s51, v3
	v_add_u32_e32 v12, s55, v12
	;; [unrolled: 1-line block ×9, first 2 shown]
	s_cmp_eq_u32 s58, 0
	v_add_u32_e32 v20, s55, v20
	s_cbranch_scc1 .LBB55_3
.LBB55_7:                               ;   Parent Loop BB55_4 Depth=1
                                        ; =>  This Inner Loop Header: Depth=2
	v_ashrrev_i32_e32 v4, 31, v3
	s_and_saveexec_b64 s[44:45], s[6:7]
	s_cbranch_execnz .LBB55_16
; %bb.8:                                ;   in Loop: Header=BB55_7 Depth=2
	s_or_b64 exec, exec, s[44:45]
	s_and_saveexec_b64 s[44:45], s[30:31]
	s_cbranch_execnz .LBB55_17
.LBB55_9:                               ;   in Loop: Header=BB55_7 Depth=2
	s_or_b64 exec, exec, s[44:45]
	s_and_saveexec_b64 s[44:45], s[34:35]
	s_cbranch_execnz .LBB55_18
.LBB55_10:                              ;   in Loop: Header=BB55_7 Depth=2
	s_or_b64 exec, exec, s[44:45]
	s_and_saveexec_b64 s[44:45], s[36:37]
	s_cbranch_execnz .LBB55_19
.LBB55_11:                              ;   in Loop: Header=BB55_7 Depth=2
	s_or_b64 exec, exec, s[44:45]
	s_and_saveexec_b64 s[44:45], s[38:39]
	s_cbranch_execnz .LBB55_20
.LBB55_12:                              ;   in Loop: Header=BB55_7 Depth=2
	s_or_b64 exec, exec, s[44:45]
	s_and_saveexec_b64 s[44:45], s[2:3]
	s_cbranch_execnz .LBB55_21
.LBB55_13:                              ;   in Loop: Header=BB55_7 Depth=2
	s_or_b64 exec, exec, s[44:45]
	s_and_saveexec_b64 s[44:45], s[40:41]
	s_cbranch_execnz .LBB55_22
.LBB55_14:                              ;   in Loop: Header=BB55_7 Depth=2
	s_or_b64 exec, exec, s[44:45]
	s_and_saveexec_b64 s[44:45], s[42:43]
	s_cbranch_execnz .LBB55_23
.LBB55_15:                              ;   in Loop: Header=BB55_7 Depth=2
	s_or_b64 exec, exec, s[44:45]
	s_and_saveexec_b64 s[44:45], s[4:5]
	s_cbranch_execz .LBB55_6
	s_branch .LBB55_24
.LBB55_16:                              ;   in Loop: Header=BB55_7 Depth=2
	v_lshlrev_b64 v[23:24], 1, v[3:4]
	v_add_u32_e32 v22, v11, v20
	v_add_co_u32_e32 v25, vcc, s26, v23
	v_ashrrev_i32_e32 v23, 31, v22
	v_mov_b32_e32 v26, s27
	v_lshlrev_b64 v[22:23], 1, v[22:23]
	v_addc_co_u32_e32 v26, vcc, v26, v24, vcc
	v_mov_b32_e32 v24, s23
	v_add_co_u32_e32 v22, vcc, s22, v22
	v_addc_co_u32_e32 v23, vcc, v24, v23, vcc
	global_load_ushort v22, v[22:23], off
	s_nop 0
	global_load_ushort v23, v[25:26], off
	s_waitcnt vmcnt(1)
	v_lshlrev_b32_e32 v22, 16, v22
	s_waitcnt vmcnt(0)
	v_lshlrev_b32_e32 v23, 16, v23
	v_fmac_f32_e32 v21, v23, v22
	s_or_b64 exec, exec, s[44:45]
	s_and_saveexec_b64 s[44:45], s[30:31]
	s_cbranch_execz .LBB55_9
.LBB55_17:                              ;   in Loop: Header=BB55_7 Depth=2
	v_lshlrev_b64 v[23:24], 1, v[3:4]
	v_add_u32_e32 v22, v11, v19
	v_add_co_u32_e32 v25, vcc, s26, v23
	v_ashrrev_i32_e32 v23, 31, v22
	v_mov_b32_e32 v26, s27
	v_lshlrev_b64 v[22:23], 1, v[22:23]
	v_addc_co_u32_e32 v26, vcc, v26, v24, vcc
	v_mov_b32_e32 v24, s23
	v_add_co_u32_e32 v22, vcc, s22, v22
	v_addc_co_u32_e32 v23, vcc, v24, v23, vcc
	global_load_ushort v22, v[22:23], off
	s_nop 0
	global_load_ushort v23, v[25:26], off offset:2
	s_waitcnt vmcnt(1)
	v_lshlrev_b32_e32 v22, 16, v22
	s_waitcnt vmcnt(0)
	v_lshlrev_b32_e32 v23, 16, v23
	v_fmac_f32_e32 v21, v23, v22
	s_or_b64 exec, exec, s[44:45]
	s_and_saveexec_b64 s[44:45], s[34:35]
	s_cbranch_execz .LBB55_10
.LBB55_18:                              ;   in Loop: Header=BB55_7 Depth=2
	v_lshlrev_b64 v[23:24], 1, v[3:4]
	v_add_u32_e32 v22, v11, v18
	v_add_co_u32_e32 v25, vcc, s26, v23
	v_ashrrev_i32_e32 v23, 31, v22
	v_mov_b32_e32 v26, s27
	v_lshlrev_b64 v[22:23], 1, v[22:23]
	v_addc_co_u32_e32 v26, vcc, v26, v24, vcc
	v_mov_b32_e32 v24, s23
	v_add_co_u32_e32 v22, vcc, s22, v22
	v_addc_co_u32_e32 v23, vcc, v24, v23, vcc
	global_load_ushort v22, v[22:23], off
	s_nop 0
	global_load_ushort v23, v[25:26], off offset:4
	s_waitcnt vmcnt(1)
	v_lshlrev_b32_e32 v22, 16, v22
	s_waitcnt vmcnt(0)
	v_lshlrev_b32_e32 v23, 16, v23
	v_fmac_f32_e32 v21, v23, v22
	s_or_b64 exec, exec, s[44:45]
	s_and_saveexec_b64 s[44:45], s[36:37]
	s_cbranch_execz .LBB55_11
.LBB55_19:                              ;   in Loop: Header=BB55_7 Depth=2
	v_lshlrev_b64 v[23:24], 1, v[3:4]
	v_add_u32_e32 v22, v11, v17
	v_add_co_u32_e32 v25, vcc, s26, v23
	v_ashrrev_i32_e32 v23, 31, v22
	v_mov_b32_e32 v26, s27
	v_lshlrev_b64 v[22:23], 1, v[22:23]
	v_addc_co_u32_e32 v26, vcc, v26, v24, vcc
	v_mov_b32_e32 v24, s23
	v_add_co_u32_e32 v22, vcc, s22, v22
	v_addc_co_u32_e32 v23, vcc, v24, v23, vcc
	global_load_ushort v22, v[22:23], off
	s_nop 0
	global_load_ushort v23, v[25:26], off offset:6
	s_waitcnt vmcnt(1)
	v_lshlrev_b32_e32 v22, 16, v22
	s_waitcnt vmcnt(0)
	v_lshlrev_b32_e32 v23, 16, v23
	v_fmac_f32_e32 v21, v23, v22
	s_or_b64 exec, exec, s[44:45]
	s_and_saveexec_b64 s[44:45], s[38:39]
	s_cbranch_execz .LBB55_12
.LBB55_20:                              ;   in Loop: Header=BB55_7 Depth=2
	v_lshlrev_b64 v[23:24], 1, v[3:4]
	v_add_u32_e32 v22, v11, v16
	v_add_co_u32_e32 v25, vcc, s26, v23
	v_ashrrev_i32_e32 v23, 31, v22
	v_mov_b32_e32 v26, s27
	v_lshlrev_b64 v[22:23], 1, v[22:23]
	v_addc_co_u32_e32 v26, vcc, v26, v24, vcc
	v_mov_b32_e32 v24, s23
	v_add_co_u32_e32 v22, vcc, s22, v22
	v_addc_co_u32_e32 v23, vcc, v24, v23, vcc
	global_load_ushort v22, v[22:23], off
	s_nop 0
	global_load_ushort v23, v[25:26], off offset:8
	s_waitcnt vmcnt(1)
	v_lshlrev_b32_e32 v22, 16, v22
	s_waitcnt vmcnt(0)
	v_lshlrev_b32_e32 v23, 16, v23
	v_fmac_f32_e32 v21, v23, v22
	s_or_b64 exec, exec, s[44:45]
	s_and_saveexec_b64 s[44:45], s[2:3]
	s_cbranch_execz .LBB55_13
.LBB55_21:                              ;   in Loop: Header=BB55_7 Depth=2
	v_lshlrev_b64 v[23:24], 1, v[3:4]
	v_add_u32_e32 v22, v11, v15
	v_add_co_u32_e32 v25, vcc, s26, v23
	v_ashrrev_i32_e32 v23, 31, v22
	v_mov_b32_e32 v26, s27
	v_lshlrev_b64 v[22:23], 1, v[22:23]
	v_addc_co_u32_e32 v26, vcc, v26, v24, vcc
	v_mov_b32_e32 v24, s23
	v_add_co_u32_e32 v22, vcc, s22, v22
	v_addc_co_u32_e32 v23, vcc, v24, v23, vcc
	global_load_ushort v22, v[22:23], off
	s_nop 0
	global_load_ushort v23, v[25:26], off offset:10
	s_waitcnt vmcnt(1)
	v_lshlrev_b32_e32 v22, 16, v22
	s_waitcnt vmcnt(0)
	v_lshlrev_b32_e32 v23, 16, v23
	v_fmac_f32_e32 v21, v23, v22
	s_or_b64 exec, exec, s[44:45]
	s_and_saveexec_b64 s[44:45], s[40:41]
	s_cbranch_execz .LBB55_14
.LBB55_22:                              ;   in Loop: Header=BB55_7 Depth=2
	v_lshlrev_b64 v[23:24], 1, v[3:4]
	v_add_u32_e32 v22, v11, v14
	v_add_co_u32_e32 v25, vcc, s26, v23
	v_ashrrev_i32_e32 v23, 31, v22
	v_mov_b32_e32 v26, s27
	v_lshlrev_b64 v[22:23], 1, v[22:23]
	v_addc_co_u32_e32 v26, vcc, v26, v24, vcc
	v_mov_b32_e32 v24, s23
	v_add_co_u32_e32 v22, vcc, s22, v22
	v_addc_co_u32_e32 v23, vcc, v24, v23, vcc
	global_load_ushort v22, v[22:23], off
	s_nop 0
	global_load_ushort v23, v[25:26], off offset:12
	s_waitcnt vmcnt(1)
	v_lshlrev_b32_e32 v22, 16, v22
	s_waitcnt vmcnt(0)
	v_lshlrev_b32_e32 v23, 16, v23
	v_fmac_f32_e32 v21, v23, v22
	s_or_b64 exec, exec, s[44:45]
	s_and_saveexec_b64 s[44:45], s[42:43]
	s_cbranch_execz .LBB55_15
.LBB55_23:                              ;   in Loop: Header=BB55_7 Depth=2
	v_lshlrev_b64 v[23:24], 1, v[3:4]
	v_add_u32_e32 v22, v11, v13
	v_add_co_u32_e32 v25, vcc, s26, v23
	v_ashrrev_i32_e32 v23, 31, v22
	v_mov_b32_e32 v26, s27
	v_lshlrev_b64 v[22:23], 1, v[22:23]
	v_addc_co_u32_e32 v26, vcc, v26, v24, vcc
	v_mov_b32_e32 v24, s23
	v_add_co_u32_e32 v22, vcc, s22, v22
	v_addc_co_u32_e32 v23, vcc, v24, v23, vcc
	global_load_ushort v22, v[22:23], off
	s_nop 0
	global_load_ushort v23, v[25:26], off offset:14
	s_waitcnt vmcnt(1)
	v_lshlrev_b32_e32 v22, 16, v22
	s_waitcnt vmcnt(0)
	v_lshlrev_b32_e32 v23, 16, v23
	v_fmac_f32_e32 v21, v23, v22
	s_or_b64 exec, exec, s[44:45]
	s_and_saveexec_b64 s[44:45], s[4:5]
	s_cbranch_execz .LBB55_6
.LBB55_24:                              ;   in Loop: Header=BB55_7 Depth=2
	v_lshlrev_b64 v[23:24], 1, v[3:4]
	v_add_u32_e32 v22, v11, v12
	v_add_co_u32_e32 v25, vcc, s26, v23
	v_ashrrev_i32_e32 v23, 31, v22
	v_mov_b32_e32 v4, s27
	v_lshlrev_b64 v[22:23], 1, v[22:23]
	v_addc_co_u32_e32 v26, vcc, v4, v24, vcc
	v_mov_b32_e32 v4, s23
	v_add_co_u32_e32 v22, vcc, s22, v22
	v_addc_co_u32_e32 v23, vcc, v4, v23, vcc
	global_load_ushort v4, v[22:23], off
	s_nop 0
	global_load_ushort v22, v[25:26], off offset:16
	s_waitcnt vmcnt(1)
	v_lshlrev_b32_e32 v4, 16, v4
	s_waitcnt vmcnt(0)
	v_lshlrev_b32_e32 v22, 16, v22
	v_fmac_f32_e32 v21, v22, v4
	s_branch .LBB55_6
.LBB55_25:
	s_endpgm
	.section	.rodata,"a",@progbits
	.p2align	6, 0x0
	.amdhsa_kernel _ZN2at6native12_GLOBAL__N_132conv_depthwise2d_backward_kernelILi3ELi1EN3c108BFloat16EiEEvN5torch10headeronly6detail27GenericPackedTensorAccessorINS7_14TensorAccessorINS3_8ArrayRefIlEEKT1_Lm3ENS6_16DefaultPtrTraitsEiEENS_6detail16IndexBoundsCheckILm4EiEESD_Lm4ESE_iEENS8_INS9_ISB_SC_Lm3ESE_iEESI_SC_Lm4ESE_iEESJ_T2_iiiiiiiiiiiiiii
		.amdhsa_group_segment_fixed_size 0
		.amdhsa_private_segment_fixed_size 0
		.amdhsa_kernarg_size 440
		.amdhsa_user_sgpr_count 6
		.amdhsa_user_sgpr_private_segment_buffer 1
		.amdhsa_user_sgpr_dispatch_ptr 0
		.amdhsa_user_sgpr_queue_ptr 0
		.amdhsa_user_sgpr_kernarg_segment_ptr 1
		.amdhsa_user_sgpr_dispatch_id 0
		.amdhsa_user_sgpr_flat_scratch_init 0
		.amdhsa_user_sgpr_private_segment_size 0
		.amdhsa_uses_dynamic_stack 0
		.amdhsa_system_sgpr_private_segment_wavefront_offset 0
		.amdhsa_system_sgpr_workgroup_id_x 1
		.amdhsa_system_sgpr_workgroup_id_y 0
		.amdhsa_system_sgpr_workgroup_id_z 0
		.amdhsa_system_sgpr_workgroup_info 0
		.amdhsa_system_vgpr_workitem_id 0
		.amdhsa_next_free_vgpr 27
		.amdhsa_next_free_sgpr 68
		.amdhsa_reserve_vcc 1
		.amdhsa_reserve_flat_scratch 0
		.amdhsa_float_round_mode_32 0
		.amdhsa_float_round_mode_16_64 0
		.amdhsa_float_denorm_mode_32 3
		.amdhsa_float_denorm_mode_16_64 3
		.amdhsa_dx10_clamp 1
		.amdhsa_ieee_mode 1
		.amdhsa_fp16_overflow 0
		.amdhsa_exception_fp_ieee_invalid_op 0
		.amdhsa_exception_fp_denorm_src 0
		.amdhsa_exception_fp_ieee_div_zero 0
		.amdhsa_exception_fp_ieee_overflow 0
		.amdhsa_exception_fp_ieee_underflow 0
		.amdhsa_exception_fp_ieee_inexact 0
		.amdhsa_exception_int_div_zero 0
	.end_amdhsa_kernel
	.section	.text._ZN2at6native12_GLOBAL__N_132conv_depthwise2d_backward_kernelILi3ELi1EN3c108BFloat16EiEEvN5torch10headeronly6detail27GenericPackedTensorAccessorINS7_14TensorAccessorINS3_8ArrayRefIlEEKT1_Lm3ENS6_16DefaultPtrTraitsEiEENS_6detail16IndexBoundsCheckILm4EiEESD_Lm4ESE_iEENS8_INS9_ISB_SC_Lm3ESE_iEESI_SC_Lm4ESE_iEESJ_T2_iiiiiiiiiiiiiii,"axG",@progbits,_ZN2at6native12_GLOBAL__N_132conv_depthwise2d_backward_kernelILi3ELi1EN3c108BFloat16EiEEvN5torch10headeronly6detail27GenericPackedTensorAccessorINS7_14TensorAccessorINS3_8ArrayRefIlEEKT1_Lm3ENS6_16DefaultPtrTraitsEiEENS_6detail16IndexBoundsCheckILm4EiEESD_Lm4ESE_iEENS8_INS9_ISB_SC_Lm3ESE_iEESI_SC_Lm4ESE_iEESJ_T2_iiiiiiiiiiiiiii,comdat
.Lfunc_end55:
	.size	_ZN2at6native12_GLOBAL__N_132conv_depthwise2d_backward_kernelILi3ELi1EN3c108BFloat16EiEEvN5torch10headeronly6detail27GenericPackedTensorAccessorINS7_14TensorAccessorINS3_8ArrayRefIlEEKT1_Lm3ENS6_16DefaultPtrTraitsEiEENS_6detail16IndexBoundsCheckILm4EiEESD_Lm4ESE_iEENS8_INS9_ISB_SC_Lm3ESE_iEESI_SC_Lm4ESE_iEESJ_T2_iiiiiiiiiiiiiii, .Lfunc_end55-_ZN2at6native12_GLOBAL__N_132conv_depthwise2d_backward_kernelILi3ELi1EN3c108BFloat16EiEEvN5torch10headeronly6detail27GenericPackedTensorAccessorINS7_14TensorAccessorINS3_8ArrayRefIlEEKT1_Lm3ENS6_16DefaultPtrTraitsEiEENS_6detail16IndexBoundsCheckILm4EiEESD_Lm4ESE_iEENS8_INS9_ISB_SC_Lm3ESE_iEESI_SC_Lm4ESE_iEESJ_T2_iiiiiiiiiiiiiii
                                        ; -- End function
	.set _ZN2at6native12_GLOBAL__N_132conv_depthwise2d_backward_kernelILi3ELi1EN3c108BFloat16EiEEvN5torch10headeronly6detail27GenericPackedTensorAccessorINS7_14TensorAccessorINS3_8ArrayRefIlEEKT1_Lm3ENS6_16DefaultPtrTraitsEiEENS_6detail16IndexBoundsCheckILm4EiEESD_Lm4ESE_iEENS8_INS9_ISB_SC_Lm3ESE_iEESI_SC_Lm4ESE_iEESJ_T2_iiiiiiiiiiiiiii.num_vgpr, 27
	.set _ZN2at6native12_GLOBAL__N_132conv_depthwise2d_backward_kernelILi3ELi1EN3c108BFloat16EiEEvN5torch10headeronly6detail27GenericPackedTensorAccessorINS7_14TensorAccessorINS3_8ArrayRefIlEEKT1_Lm3ENS6_16DefaultPtrTraitsEiEENS_6detail16IndexBoundsCheckILm4EiEESD_Lm4ESE_iEENS8_INS9_ISB_SC_Lm3ESE_iEESI_SC_Lm4ESE_iEESJ_T2_iiiiiiiiiiiiiii.num_agpr, 0
	.set _ZN2at6native12_GLOBAL__N_132conv_depthwise2d_backward_kernelILi3ELi1EN3c108BFloat16EiEEvN5torch10headeronly6detail27GenericPackedTensorAccessorINS7_14TensorAccessorINS3_8ArrayRefIlEEKT1_Lm3ENS6_16DefaultPtrTraitsEiEENS_6detail16IndexBoundsCheckILm4EiEESD_Lm4ESE_iEENS8_INS9_ISB_SC_Lm3ESE_iEESI_SC_Lm4ESE_iEESJ_T2_iiiiiiiiiiiiiii.numbered_sgpr, 68
	.set _ZN2at6native12_GLOBAL__N_132conv_depthwise2d_backward_kernelILi3ELi1EN3c108BFloat16EiEEvN5torch10headeronly6detail27GenericPackedTensorAccessorINS7_14TensorAccessorINS3_8ArrayRefIlEEKT1_Lm3ENS6_16DefaultPtrTraitsEiEENS_6detail16IndexBoundsCheckILm4EiEESD_Lm4ESE_iEENS8_INS9_ISB_SC_Lm3ESE_iEESI_SC_Lm4ESE_iEESJ_T2_iiiiiiiiiiiiiii.num_named_barrier, 0
	.set _ZN2at6native12_GLOBAL__N_132conv_depthwise2d_backward_kernelILi3ELi1EN3c108BFloat16EiEEvN5torch10headeronly6detail27GenericPackedTensorAccessorINS7_14TensorAccessorINS3_8ArrayRefIlEEKT1_Lm3ENS6_16DefaultPtrTraitsEiEENS_6detail16IndexBoundsCheckILm4EiEESD_Lm4ESE_iEENS8_INS9_ISB_SC_Lm3ESE_iEESI_SC_Lm4ESE_iEESJ_T2_iiiiiiiiiiiiiii.private_seg_size, 0
	.set _ZN2at6native12_GLOBAL__N_132conv_depthwise2d_backward_kernelILi3ELi1EN3c108BFloat16EiEEvN5torch10headeronly6detail27GenericPackedTensorAccessorINS7_14TensorAccessorINS3_8ArrayRefIlEEKT1_Lm3ENS6_16DefaultPtrTraitsEiEENS_6detail16IndexBoundsCheckILm4EiEESD_Lm4ESE_iEENS8_INS9_ISB_SC_Lm3ESE_iEESI_SC_Lm4ESE_iEESJ_T2_iiiiiiiiiiiiiii.uses_vcc, 1
	.set _ZN2at6native12_GLOBAL__N_132conv_depthwise2d_backward_kernelILi3ELi1EN3c108BFloat16EiEEvN5torch10headeronly6detail27GenericPackedTensorAccessorINS7_14TensorAccessorINS3_8ArrayRefIlEEKT1_Lm3ENS6_16DefaultPtrTraitsEiEENS_6detail16IndexBoundsCheckILm4EiEESD_Lm4ESE_iEENS8_INS9_ISB_SC_Lm3ESE_iEESI_SC_Lm4ESE_iEESJ_T2_iiiiiiiiiiiiiii.uses_flat_scratch, 0
	.set _ZN2at6native12_GLOBAL__N_132conv_depthwise2d_backward_kernelILi3ELi1EN3c108BFloat16EiEEvN5torch10headeronly6detail27GenericPackedTensorAccessorINS7_14TensorAccessorINS3_8ArrayRefIlEEKT1_Lm3ENS6_16DefaultPtrTraitsEiEENS_6detail16IndexBoundsCheckILm4EiEESD_Lm4ESE_iEENS8_INS9_ISB_SC_Lm3ESE_iEESI_SC_Lm4ESE_iEESJ_T2_iiiiiiiiiiiiiii.has_dyn_sized_stack, 0
	.set _ZN2at6native12_GLOBAL__N_132conv_depthwise2d_backward_kernelILi3ELi1EN3c108BFloat16EiEEvN5torch10headeronly6detail27GenericPackedTensorAccessorINS7_14TensorAccessorINS3_8ArrayRefIlEEKT1_Lm3ENS6_16DefaultPtrTraitsEiEENS_6detail16IndexBoundsCheckILm4EiEESD_Lm4ESE_iEENS8_INS9_ISB_SC_Lm3ESE_iEESI_SC_Lm4ESE_iEESJ_T2_iiiiiiiiiiiiiii.has_recursion, 0
	.set _ZN2at6native12_GLOBAL__N_132conv_depthwise2d_backward_kernelILi3ELi1EN3c108BFloat16EiEEvN5torch10headeronly6detail27GenericPackedTensorAccessorINS7_14TensorAccessorINS3_8ArrayRefIlEEKT1_Lm3ENS6_16DefaultPtrTraitsEiEENS_6detail16IndexBoundsCheckILm4EiEESD_Lm4ESE_iEENS8_INS9_ISB_SC_Lm3ESE_iEESI_SC_Lm4ESE_iEESJ_T2_iiiiiiiiiiiiiii.has_indirect_call, 0
	.section	.AMDGPU.csdata,"",@progbits
; Kernel info:
; codeLenInByte = 2228
; TotalNumSgprs: 72
; NumVgprs: 27
; ScratchSize: 0
; MemoryBound: 0
; FloatMode: 240
; IeeeMode: 1
; LDSByteSize: 0 bytes/workgroup (compile time only)
; SGPRBlocks: 8
; VGPRBlocks: 6
; NumSGPRsForWavesPerEU: 72
; NumVGPRsForWavesPerEU: 27
; Occupancy: 9
; WaveLimiterHint : 0
; COMPUTE_PGM_RSRC2:SCRATCH_EN: 0
; COMPUTE_PGM_RSRC2:USER_SGPR: 6
; COMPUTE_PGM_RSRC2:TRAP_HANDLER: 0
; COMPUTE_PGM_RSRC2:TGID_X_EN: 1
; COMPUTE_PGM_RSRC2:TGID_Y_EN: 0
; COMPUTE_PGM_RSRC2:TGID_Z_EN: 0
; COMPUTE_PGM_RSRC2:TIDIG_COMP_CNT: 0
	.section	.text._ZN2at6native12_GLOBAL__N_132conv_depthwise2d_backward_kernelILi3ELi2EN3c108BFloat16EiEEvN5torch10headeronly6detail27GenericPackedTensorAccessorINS7_14TensorAccessorINS3_8ArrayRefIlEEKT1_Lm3ENS6_16DefaultPtrTraitsEiEENS_6detail16IndexBoundsCheckILm4EiEESD_Lm4ESE_iEENS8_INS9_ISB_SC_Lm3ESE_iEESI_SC_Lm4ESE_iEESJ_T2_iiiiiiiiiiiiiii,"axG",@progbits,_ZN2at6native12_GLOBAL__N_132conv_depthwise2d_backward_kernelILi3ELi2EN3c108BFloat16EiEEvN5torch10headeronly6detail27GenericPackedTensorAccessorINS7_14TensorAccessorINS3_8ArrayRefIlEEKT1_Lm3ENS6_16DefaultPtrTraitsEiEENS_6detail16IndexBoundsCheckILm4EiEESD_Lm4ESE_iEENS8_INS9_ISB_SC_Lm3ESE_iEESI_SC_Lm4ESE_iEESJ_T2_iiiiiiiiiiiiiii,comdat
	.globl	_ZN2at6native12_GLOBAL__N_132conv_depthwise2d_backward_kernelILi3ELi2EN3c108BFloat16EiEEvN5torch10headeronly6detail27GenericPackedTensorAccessorINS7_14TensorAccessorINS3_8ArrayRefIlEEKT1_Lm3ENS6_16DefaultPtrTraitsEiEENS_6detail16IndexBoundsCheckILm4EiEESD_Lm4ESE_iEENS8_INS9_ISB_SC_Lm3ESE_iEESI_SC_Lm4ESE_iEESJ_T2_iiiiiiiiiiiiiii ; -- Begin function _ZN2at6native12_GLOBAL__N_132conv_depthwise2d_backward_kernelILi3ELi2EN3c108BFloat16EiEEvN5torch10headeronly6detail27GenericPackedTensorAccessorINS7_14TensorAccessorINS3_8ArrayRefIlEEKT1_Lm3ENS6_16DefaultPtrTraitsEiEENS_6detail16IndexBoundsCheckILm4EiEESD_Lm4ESE_iEENS8_INS9_ISB_SC_Lm3ESE_iEESI_SC_Lm4ESE_iEESJ_T2_iiiiiiiiiiiiiii
	.p2align	8
	.type	_ZN2at6native12_GLOBAL__N_132conv_depthwise2d_backward_kernelILi3ELi2EN3c108BFloat16EiEEvN5torch10headeronly6detail27GenericPackedTensorAccessorINS7_14TensorAccessorINS3_8ArrayRefIlEEKT1_Lm3ENS6_16DefaultPtrTraitsEiEENS_6detail16IndexBoundsCheckILm4EiEESD_Lm4ESE_iEENS8_INS9_ISB_SC_Lm3ESE_iEESI_SC_Lm4ESE_iEESJ_T2_iiiiiiiiiiiiiii,@function
_ZN2at6native12_GLOBAL__N_132conv_depthwise2d_backward_kernelILi3ELi2EN3c108BFloat16EiEEvN5torch10headeronly6detail27GenericPackedTensorAccessorINS7_14TensorAccessorINS3_8ArrayRefIlEEKT1_Lm3ENS6_16DefaultPtrTraitsEiEENS_6detail16IndexBoundsCheckILm4EiEESD_Lm4ESE_iEENS8_INS9_ISB_SC_Lm3ESE_iEESI_SC_Lm4ESE_iEESJ_T2_iiiiiiiiiiiiiii: ; @_ZN2at6native12_GLOBAL__N_132conv_depthwise2d_backward_kernelILi3ELi2EN3c108BFloat16EiEEvN5torch10headeronly6detail27GenericPackedTensorAccessorINS7_14TensorAccessorINS3_8ArrayRefIlEEKT1_Lm3ENS6_16DefaultPtrTraitsEiEENS_6detail16IndexBoundsCheckILm4EiEESD_Lm4ESE_iEENS8_INS9_ISB_SC_Lm3ESE_iEESI_SC_Lm4ESE_iEESJ_T2_iiiiiiiiiiiiiii
; %bb.0:
	s_load_dword s2, s[4:5], 0xc4
	s_load_dwordx8 s[24:31], s[4:5], 0x78
	s_add_u32 s0, s4, 0xb8
	s_addc_u32 s1, s5, 0
	v_mov_b32_e32 v1, 0
	s_waitcnt lgkmcnt(0)
	s_and_b32 s2, s2, 0xffff
	v_mov_b32_e32 v2, s6
	v_mad_u64_u32 v[0:1], s[6:7], s2, v2, v[0:1]
	s_ashr_i32 s23, s24, 31
	s_mov_b32 s22, s24
	v_cmp_gt_i64_e32 vcc, s[22:23], v[0:1]
	s_and_saveexec_b64 s[6:7], vcc
	s_cbranch_execz .LBB56_25
; %bb.1:
	s_cmp_gt_i32 s26, 0
	s_cselect_b64 s[6:7], -1, 0
	s_abs_i32 s24, s28
	v_cvt_f32_u32_e32 v2, s24
	s_abs_i32 s33, s29
	v_cvt_f32_u32_e32 v3, s33
	s_abs_i32 s48, s25
	v_rcp_iflag_f32_e32 v2, v2
	v_cvt_f32_u32_e32 v4, s48
	v_rcp_iflag_f32_e32 v3, v3
	s_load_dwordx2 s[8:9], s[4:5], 0x98
	s_load_dwordx2 s[34:35], s[4:5], 0x0
	;; [unrolled: 1-line block ×4, first 2 shown]
	s_load_dword s3, s[0:1], 0x0
	v_mul_f32_e32 v2, 0x4f7ffffe, v2
	v_rcp_iflag_f32_e32 v4, v4
	v_cvt_u32_f32_e32 v2, v2
	v_mul_f32_e32 v3, 0x4f7ffffe, v3
	s_sub_i32 s0, 0, s24
	v_cvt_u32_f32_e32 v3, v3
	v_mul_f32_e32 v4, 0x4f7ffffe, v4
	v_mul_lo_u32 v5, s0, v2
	v_cvt_u32_f32_e32 v6, v4
	s_sub_i32 s0, 0, s33
	v_mul_lo_u32 v4, s0, v3
	s_sub_i32 s0, 0, s48
	v_mul_hi_u32 v5, v2, v5
	v_mul_lo_u32 v7, s0, v6
	v_mul_hi_u32 v8, v3, v4
	s_load_dwordx4 s[36:39], s[4:5], 0xa8
	v_add_u32_e32 v4, v2, v5
	v_mul_hi_u32 v2, v6, v7
	s_waitcnt lgkmcnt(0)
	s_mul_i32 s53, s9, s8
	s_mul_i32 s49, s3, s2
	s_ashr_i32 s50, s28, 31
	v_add_u32_e32 v6, v6, v2
	v_cndmask_b32_e64 v2, 0, 1, s[6:7]
	s_ashr_i32 s51, s29, 31
	v_add_u32_e32 v5, v3, v8
	s_ashr_i32 s52, s25, 31
	s_mul_i32 s54, s53, s26
	s_mul_i32 s55, s31, s30
	s_mov_b64 s[44:45], 0
	v_cmp_ne_u32_e64 s[0:1], 1, v2
	s_movk_i32 s56, 0x7fff
	v_mov_b32_e32 v7, 0x7fc0
	s_branch .LBB56_4
.LBB56_2:                               ;   in Loop: Header=BB56_4 Depth=1
	v_mov_b32_e32 v11, 0
.LBB56_3:                               ;   in Loop: Header=BB56_4 Depth=1
	v_bfe_u32 v2, v11, 16, 1
	v_add3_u32 v2, v11, v2, s56
	v_cmp_o_f32_e32 vcc, v11, v11
	v_cndmask_b32_sdwa v8, v7, v2, vcc dst_sel:DWORD dst_unused:UNUSED_PAD src0_sel:DWORD src1_sel:WORD_1
	v_lshlrev_b64 v[2:3], 1, v[0:1]
	v_add_co_u32_e32 v0, vcc, s49, v0
	v_addc_co_u32_e32 v1, vcc, 0, v1, vcc
	v_cmp_le_i64_e32 vcc, s[22:23], v[0:1]
	v_mov_b32_e32 v9, s41
	v_add_co_u32_e64 v2, s[2:3], s40, v2
	v_addc_co_u32_e64 v3, s[2:3], v9, v3, s[2:3]
	s_or_b64 s[44:45], vcc, s[44:45]
	global_store_short v[2:3], v8, off
	s_andn2_b64 exec, exec, s[44:45]
	s_cbranch_execz .LBB56_25
.LBB56_4:                               ; =>This Loop Header: Depth=1
                                        ;     Child Loop BB56_7 Depth 2
	s_and_b64 vcc, exec, s[0:1]
	s_cbranch_vccnz .LBB56_2
; %bb.5:                                ;   in Loop: Header=BB56_4 Depth=1
	v_sub_u32_e32 v2, 0, v0
	v_max_i32_e32 v2, v0, v2
	v_mul_hi_u32 v3, v2, v4
	v_ashrrev_i32_e32 v9, 31, v0
	v_xor_b32_e32 v9, s50, v9
	s_mov_b32 s57, 0
	v_mul_lo_u32 v8, v3, s24
	v_add_u32_e32 v10, 1, v3
	v_sub_u32_e32 v2, v2, v8
	v_cmp_le_u32_e32 vcc, s24, v2
	v_subrev_u32_e32 v8, s24, v2
	v_cndmask_b32_e32 v3, v3, v10, vcc
	v_cndmask_b32_e32 v2, v2, v8, vcc
	v_add_u32_e32 v8, 1, v3
	v_cmp_le_u32_e32 vcc, s24, v2
	v_cndmask_b32_e32 v2, v3, v8, vcc
	v_xor_b32_e32 v2, v2, v9
	v_sub_u32_e32 v2, v2, v9
	v_sub_u32_e32 v3, 0, v2
	v_max_i32_e32 v3, v2, v3
	v_mul_hi_u32 v8, v3, v5
	v_ashrrev_i32_e32 v10, 31, v2
	v_xor_b32_e32 v10, s51, v10
	v_mul_lo_u32 v9, v8, s33
	v_add_u32_e32 v11, 1, v8
	v_sub_u32_e32 v3, v3, v9
	v_cmp_le_u32_e32 vcc, s33, v3
	v_subrev_u32_e32 v9, s33, v3
	v_cndmask_b32_e32 v8, v8, v11, vcc
	v_cndmask_b32_e32 v3, v3, v9, vcc
	v_add_u32_e32 v9, 1, v8
	v_cmp_le_u32_e32 vcc, s33, v3
	v_cndmask_b32_e32 v3, v8, v9, vcc
	v_xor_b32_e32 v3, v3, v10
	v_sub_u32_e32 v3, v3, v10
	v_sub_u32_e32 v8, 0, v3
	v_max_i32_e32 v8, v3, v8
	v_mul_hi_u32 v9, v8, v6
	v_ashrrev_i32_e32 v11, 31, v3
	v_xor_b32_e32 v11, s52, v11
	v_mul_lo_u32 v10, v9, s48
	v_add_u32_e32 v12, 1, v9
	v_sub_u32_e32 v8, v8, v10
	v_cmp_le_u32_e32 vcc, s48, v8
	v_subrev_u32_e32 v10, s48, v8
	v_cndmask_b32_e32 v9, v9, v12, vcc
	v_cndmask_b32_e32 v8, v8, v10, vcc
	v_add_u32_e32 v10, 1, v9
	v_cmp_le_u32_e32 vcc, s48, v8
	v_cndmask_b32_e32 v8, v9, v10, vcc
	v_xor_b32_e32 v8, v8, v11
	v_sub_u32_e32 v8, v8, v11
	v_mul_lo_u32 v9, v8, s25
	v_mul_lo_u32 v11, v2, s28
	v_add_u32_e32 v10, s37, v2
	v_add_u32_e32 v12, s36, v0
	v_sub_u32_e32 v9, v3, v9
	v_mul_lo_u32 v3, v3, s29
	v_mul_lo_u32 v2, v8, s27
	v_sub_u32_e32 v14, v12, v11
	v_add_u32_e32 v11, s38, v11
	v_sub_u32_e32 v8, v10, v3
	v_or_b32_e32 v15, v8, v14
	v_and_b32_e32 v15, 1, v15
	v_cmp_eq_u32_e64 s[4:5], 1, v15
	v_sub_u32_e32 v15, v12, v11
	v_ashrrev_i32_e32 v17, 1, v14
	v_or_b32_e32 v16, v8, v15
	v_add_u32_e32 v11, s38, v11
	v_cmp_lt_i32_e64 s[6:7], -1, v17
	v_cmp_gt_i32_e64 s[8:9], s30, v17
	v_and_b32_e32 v16, 1, v16
	v_sub_u32_e32 v11, v12, v11
	v_ashrrev_i32_e32 v13, 1, v8
	s_and_b64 s[46:47], s[6:7], s[8:9]
	v_cmp_eq_u32_e64 s[6:7], 1, v16
	v_ashrrev_i32_e32 v16, 1, v15
	v_or_b32_e32 v8, v8, v11
	v_cmp_lt_i32_e64 s[8:9], -1, v16
	v_cmp_gt_i32_e64 s[10:11], s30, v16
	v_and_b32_e32 v8, 1, v8
	v_add_u32_e32 v3, s39, v3
	s_and_b64 s[60:61], s[8:9], s[10:11]
	v_cmp_eq_u32_e64 s[8:9], 1, v8
	v_sub_u32_e32 v8, v10, v3
	v_ashrrev_i32_e32 v18, 1, v11
	v_or_b32_e32 v19, v8, v14
	v_cmp_lt_i32_e64 s[10:11], -1, v18
	v_cmp_gt_i32_e64 s[12:13], s30, v18
	v_and_b32_e32 v19, 1, v19
	v_add_u32_e32 v3, s39, v3
	s_and_b64 s[64:65], s[10:11], s[12:13]
	v_ashrrev_i32_e32 v12, 1, v8
	v_cmp_eq_u32_e64 s[12:13], 1, v19
	v_or_b32_e32 v19, v8, v15
	v_or_b32_e32 v8, v8, v11
	v_sub_u32_e32 v3, v10, v3
	v_and_b32_e32 v8, 1, v8
	v_or_b32_e32 v10, v3, v14
	v_cmp_gt_i32_e64 s[2:3], s31, v13
	v_cmp_gt_i32_e64 s[10:11], s31, v12
	v_and_b32_e32 v19, 1, v19
	v_cmp_eq_u32_e64 s[16:17], 1, v8
	v_ashrrev_i32_e32 v8, 1, v3
	v_and_b32_e32 v10, 1, v10
	v_cmp_gt_i32_e32 vcc, 0, v13
	s_and_b64 s[58:59], s[2:3], s[46:47]
	s_and_b64 s[62:63], s[2:3], s[60:61]
	;; [unrolled: 1-line block ×3, first 2 shown]
	v_cmp_gt_i32_e64 s[2:3], 0, v12
	v_cmp_eq_u32_e64 s[14:15], 1, v19
	s_and_b64 s[72:73], s[10:11], s[64:65]
	v_cmp_gt_i32_e64 s[18:19], s31, v8
	v_cmp_eq_u32_e64 s[20:21], 1, v10
	v_or_b32_e32 v10, v3, v15
	v_or_b32_e32 v3, v3, v11
	s_and_b64 s[68:69], s[10:11], s[46:47]
	s_and_b64 s[70:71], s[10:11], s[60:61]
	v_cmp_gt_i32_e64 s[10:11], 0, v8
	s_and_b64 s[74:75], s[18:19], s[46:47]
	v_and_b32_e32 v3, 1, v3
	s_or_b64 s[4:5], s[4:5], vcc
	s_xor_b64 s[46:47], s[58:59], -1
	s_or_b64 s[12:13], s[12:13], s[2:3]
	s_or_b64 s[14:15], s[14:15], s[2:3]
	;; [unrolled: 1-line block ×3, first 2 shown]
	s_xor_b64 s[16:17], s[72:73], -1
	s_nor_b64 s[46:47], s[4:5], s[46:47]
	v_cmp_eq_u32_e64 s[4:5], 1, v3
	s_nor_b64 s[2:3], s[2:3], s[16:17]
	s_or_b64 s[16:17], s[20:21], s[10:11]
	v_mad_u64_u32 v[2:3], s[20:21], v9, s26, v[2:3]
	v_and_b32_e32 v10, 1, v10
	s_and_b64 s[60:61], s[18:19], s[60:61]
	v_mul_lo_u32 v3, s31, v2
	s_and_b64 s[64:65], s[18:19], s[64:65]
	v_cmp_eq_u32_e64 s[18:19], 1, v10
	s_or_b64 s[6:7], s[6:7], vcc
	v_add_u32_e32 v2, v8, v3
	v_add_u32_e32 v11, v12, v3
	;; [unrolled: 1-line block ×3, first 2 shown]
	s_xor_b64 s[58:59], s[62:63], -1
	v_mul_lo_u32 v10, s30, v2
	v_mul_lo_u32 v11, s30, v11
	;; [unrolled: 1-line block ×3, first 2 shown]
	s_nor_b64 s[6:7], s[6:7], s[58:59]
	s_or_b64 s[8:9], s[8:9], vcc
	s_xor_b64 s[58:59], s[66:67], -1
	v_mul_lo_u32 v2, s54, v9
	s_nor_b64 s[8:9], s[8:9], s[58:59]
	s_xor_b64 s[58:59], s[68:69], -1
	s_xor_b64 s[20:21], s[74:75], -1
	s_nor_b64 s[12:13], s[12:13], s[58:59]
	s_xor_b64 s[58:59], s[70:71], -1
	s_nor_b64 s[16:17], s[16:17], s[20:21]
	s_or_b64 s[18:19], s[18:19], s[10:11]
	s_xor_b64 s[20:21], s[60:61], -1
	s_or_b64 s[4:5], s[4:5], s[10:11]
	s_xor_b64 s[10:11], s[64:65], -1
	s_nor_b64 s[14:15], s[14:15], s[58:59]
	s_nor_b64 s[18:19], s[18:19], s[20:21]
	;; [unrolled: 1-line block ×3, first 2 shown]
	v_add_u32_e32 v8, v18, v10
	v_add_u32_e32 v9, v16, v10
	v_add_u32_e32 v10, v17, v10
	v_add_u32_e32 v12, v18, v11
	v_add_u32_e32 v13, v16, v11
	v_add_u32_e32 v14, v17, v11
	v_add_u32_e32 v15, v18, v3
	v_add_u32_e32 v16, v16, v3
	v_add_u32_e32 v17, v17, v3
	v_mov_b32_e32 v11, 0
	s_mov_b32 s20, s26
	s_branch .LBB56_7
.LBB56_6:                               ;   in Loop: Header=BB56_7 Depth=2
	s_or_b64 exec, exec, s[10:11]
	s_add_i32 s20, s20, -1
	s_add_i32 s57, s57, s55
	s_cmp_eq_u32 s20, 0
	v_add_u32_e32 v2, s53, v2
	s_cbranch_scc1 .LBB56_3
.LBB56_7:                               ;   Parent Loop BB56_4 Depth=1
                                        ; =>  This Inner Loop Header: Depth=2
	v_ashrrev_i32_e32 v3, 31, v2
	s_and_saveexec_b64 s[10:11], s[46:47]
	s_cbranch_execnz .LBB56_16
; %bb.8:                                ;   in Loop: Header=BB56_7 Depth=2
	s_or_b64 exec, exec, s[10:11]
	s_and_saveexec_b64 s[10:11], s[6:7]
	s_cbranch_execnz .LBB56_17
.LBB56_9:                               ;   in Loop: Header=BB56_7 Depth=2
	s_or_b64 exec, exec, s[10:11]
	s_and_saveexec_b64 s[10:11], s[8:9]
	s_cbranch_execnz .LBB56_18
.LBB56_10:                              ;   in Loop: Header=BB56_7 Depth=2
	s_or_b64 exec, exec, s[10:11]
	s_and_saveexec_b64 s[10:11], s[12:13]
	s_cbranch_execnz .LBB56_19
.LBB56_11:                              ;   in Loop: Header=BB56_7 Depth=2
	s_or_b64 exec, exec, s[10:11]
	s_and_saveexec_b64 s[10:11], s[14:15]
	s_cbranch_execnz .LBB56_20
.LBB56_12:                              ;   in Loop: Header=BB56_7 Depth=2
	s_or_b64 exec, exec, s[10:11]
	s_and_saveexec_b64 s[10:11], s[2:3]
	s_cbranch_execnz .LBB56_21
.LBB56_13:                              ;   in Loop: Header=BB56_7 Depth=2
	s_or_b64 exec, exec, s[10:11]
	s_and_saveexec_b64 s[10:11], s[16:17]
	s_cbranch_execnz .LBB56_22
.LBB56_14:                              ;   in Loop: Header=BB56_7 Depth=2
	s_or_b64 exec, exec, s[10:11]
	s_and_saveexec_b64 s[10:11], s[18:19]
	s_cbranch_execnz .LBB56_23
.LBB56_15:                              ;   in Loop: Header=BB56_7 Depth=2
	s_or_b64 exec, exec, s[10:11]
	s_and_saveexec_b64 s[10:11], s[4:5]
	s_cbranch_execz .LBB56_6
	s_branch .LBB56_24
.LBB56_16:                              ;   in Loop: Header=BB56_7 Depth=2
	v_lshlrev_b64 v[19:20], 1, v[2:3]
	v_add_u32_e32 v18, s57, v17
	v_add_co_u32_e32 v21, vcc, s42, v19
	v_ashrrev_i32_e32 v19, 31, v18
	v_mov_b32_e32 v22, s43
	v_lshlrev_b64 v[18:19], 1, v[18:19]
	v_addc_co_u32_e32 v22, vcc, v22, v20, vcc
	v_mov_b32_e32 v20, s35
	v_add_co_u32_e32 v18, vcc, s34, v18
	v_addc_co_u32_e32 v19, vcc, v20, v19, vcc
	global_load_ushort v18, v[18:19], off
	s_nop 0
	global_load_ushort v19, v[21:22], off
	s_waitcnt vmcnt(1)
	v_lshlrev_b32_e32 v18, 16, v18
	s_waitcnt vmcnt(0)
	v_lshlrev_b32_e32 v19, 16, v19
	v_fmac_f32_e32 v11, v19, v18
	s_or_b64 exec, exec, s[10:11]
	s_and_saveexec_b64 s[10:11], s[6:7]
	s_cbranch_execz .LBB56_9
.LBB56_17:                              ;   in Loop: Header=BB56_7 Depth=2
	v_lshlrev_b64 v[19:20], 1, v[2:3]
	v_add_u32_e32 v18, s57, v16
	v_add_co_u32_e32 v21, vcc, s42, v19
	v_ashrrev_i32_e32 v19, 31, v18
	v_mov_b32_e32 v22, s43
	v_lshlrev_b64 v[18:19], 1, v[18:19]
	v_addc_co_u32_e32 v22, vcc, v22, v20, vcc
	v_mov_b32_e32 v20, s35
	v_add_co_u32_e32 v18, vcc, s34, v18
	v_addc_co_u32_e32 v19, vcc, v20, v19, vcc
	global_load_ushort v18, v[18:19], off
	s_nop 0
	global_load_ushort v19, v[21:22], off offset:2
	s_waitcnt vmcnt(1)
	v_lshlrev_b32_e32 v18, 16, v18
	s_waitcnt vmcnt(0)
	v_lshlrev_b32_e32 v19, 16, v19
	v_fmac_f32_e32 v11, v19, v18
	s_or_b64 exec, exec, s[10:11]
	s_and_saveexec_b64 s[10:11], s[8:9]
	s_cbranch_execz .LBB56_10
.LBB56_18:                              ;   in Loop: Header=BB56_7 Depth=2
	v_lshlrev_b64 v[19:20], 1, v[2:3]
	v_add_u32_e32 v18, s57, v15
	v_add_co_u32_e32 v21, vcc, s42, v19
	v_ashrrev_i32_e32 v19, 31, v18
	v_mov_b32_e32 v22, s43
	v_lshlrev_b64 v[18:19], 1, v[18:19]
	v_addc_co_u32_e32 v22, vcc, v22, v20, vcc
	v_mov_b32_e32 v20, s35
	v_add_co_u32_e32 v18, vcc, s34, v18
	v_addc_co_u32_e32 v19, vcc, v20, v19, vcc
	global_load_ushort v18, v[18:19], off
	s_nop 0
	global_load_ushort v19, v[21:22], off offset:4
	s_waitcnt vmcnt(1)
	v_lshlrev_b32_e32 v18, 16, v18
	s_waitcnt vmcnt(0)
	v_lshlrev_b32_e32 v19, 16, v19
	v_fmac_f32_e32 v11, v19, v18
	s_or_b64 exec, exec, s[10:11]
	s_and_saveexec_b64 s[10:11], s[12:13]
	s_cbranch_execz .LBB56_11
.LBB56_19:                              ;   in Loop: Header=BB56_7 Depth=2
	v_lshlrev_b64 v[19:20], 1, v[2:3]
	v_add_u32_e32 v18, s57, v14
	v_add_co_u32_e32 v21, vcc, s42, v19
	v_ashrrev_i32_e32 v19, 31, v18
	v_mov_b32_e32 v22, s43
	v_lshlrev_b64 v[18:19], 1, v[18:19]
	v_addc_co_u32_e32 v22, vcc, v22, v20, vcc
	v_mov_b32_e32 v20, s35
	v_add_co_u32_e32 v18, vcc, s34, v18
	v_addc_co_u32_e32 v19, vcc, v20, v19, vcc
	global_load_ushort v18, v[18:19], off
	s_nop 0
	global_load_ushort v19, v[21:22], off offset:6
	s_waitcnt vmcnt(1)
	v_lshlrev_b32_e32 v18, 16, v18
	s_waitcnt vmcnt(0)
	v_lshlrev_b32_e32 v19, 16, v19
	v_fmac_f32_e32 v11, v19, v18
	s_or_b64 exec, exec, s[10:11]
	s_and_saveexec_b64 s[10:11], s[14:15]
	s_cbranch_execz .LBB56_12
.LBB56_20:                              ;   in Loop: Header=BB56_7 Depth=2
	v_lshlrev_b64 v[19:20], 1, v[2:3]
	v_add_u32_e32 v18, s57, v13
	v_add_co_u32_e32 v21, vcc, s42, v19
	v_ashrrev_i32_e32 v19, 31, v18
	v_mov_b32_e32 v22, s43
	v_lshlrev_b64 v[18:19], 1, v[18:19]
	v_addc_co_u32_e32 v22, vcc, v22, v20, vcc
	v_mov_b32_e32 v20, s35
	v_add_co_u32_e32 v18, vcc, s34, v18
	v_addc_co_u32_e32 v19, vcc, v20, v19, vcc
	global_load_ushort v18, v[18:19], off
	s_nop 0
	global_load_ushort v19, v[21:22], off offset:8
	s_waitcnt vmcnt(1)
	v_lshlrev_b32_e32 v18, 16, v18
	s_waitcnt vmcnt(0)
	v_lshlrev_b32_e32 v19, 16, v19
	v_fmac_f32_e32 v11, v19, v18
	s_or_b64 exec, exec, s[10:11]
	s_and_saveexec_b64 s[10:11], s[2:3]
	s_cbranch_execz .LBB56_13
.LBB56_21:                              ;   in Loop: Header=BB56_7 Depth=2
	v_lshlrev_b64 v[19:20], 1, v[2:3]
	v_add_u32_e32 v18, s57, v12
	v_add_co_u32_e32 v21, vcc, s42, v19
	v_ashrrev_i32_e32 v19, 31, v18
	v_mov_b32_e32 v22, s43
	v_lshlrev_b64 v[18:19], 1, v[18:19]
	v_addc_co_u32_e32 v22, vcc, v22, v20, vcc
	v_mov_b32_e32 v20, s35
	v_add_co_u32_e32 v18, vcc, s34, v18
	v_addc_co_u32_e32 v19, vcc, v20, v19, vcc
	global_load_ushort v18, v[18:19], off
	s_nop 0
	global_load_ushort v19, v[21:22], off offset:10
	s_waitcnt vmcnt(1)
	v_lshlrev_b32_e32 v18, 16, v18
	s_waitcnt vmcnt(0)
	v_lshlrev_b32_e32 v19, 16, v19
	v_fmac_f32_e32 v11, v19, v18
	s_or_b64 exec, exec, s[10:11]
	s_and_saveexec_b64 s[10:11], s[16:17]
	s_cbranch_execz .LBB56_14
.LBB56_22:                              ;   in Loop: Header=BB56_7 Depth=2
	v_lshlrev_b64 v[19:20], 1, v[2:3]
	v_add_u32_e32 v18, s57, v10
	v_add_co_u32_e32 v21, vcc, s42, v19
	v_ashrrev_i32_e32 v19, 31, v18
	v_mov_b32_e32 v22, s43
	v_lshlrev_b64 v[18:19], 1, v[18:19]
	v_addc_co_u32_e32 v22, vcc, v22, v20, vcc
	v_mov_b32_e32 v20, s35
	v_add_co_u32_e32 v18, vcc, s34, v18
	v_addc_co_u32_e32 v19, vcc, v20, v19, vcc
	global_load_ushort v18, v[18:19], off
	s_nop 0
	global_load_ushort v19, v[21:22], off offset:12
	s_waitcnt vmcnt(1)
	v_lshlrev_b32_e32 v18, 16, v18
	s_waitcnt vmcnt(0)
	v_lshlrev_b32_e32 v19, 16, v19
	v_fmac_f32_e32 v11, v19, v18
	s_or_b64 exec, exec, s[10:11]
	s_and_saveexec_b64 s[10:11], s[18:19]
	s_cbranch_execz .LBB56_15
.LBB56_23:                              ;   in Loop: Header=BB56_7 Depth=2
	v_lshlrev_b64 v[19:20], 1, v[2:3]
	v_add_u32_e32 v18, s57, v9
	v_add_co_u32_e32 v21, vcc, s42, v19
	v_ashrrev_i32_e32 v19, 31, v18
	v_mov_b32_e32 v22, s43
	v_lshlrev_b64 v[18:19], 1, v[18:19]
	v_addc_co_u32_e32 v22, vcc, v22, v20, vcc
	v_mov_b32_e32 v20, s35
	v_add_co_u32_e32 v18, vcc, s34, v18
	v_addc_co_u32_e32 v19, vcc, v20, v19, vcc
	global_load_ushort v18, v[18:19], off
	s_nop 0
	global_load_ushort v19, v[21:22], off offset:14
	s_waitcnt vmcnt(1)
	v_lshlrev_b32_e32 v18, 16, v18
	s_waitcnt vmcnt(0)
	v_lshlrev_b32_e32 v19, 16, v19
	v_fmac_f32_e32 v11, v19, v18
	s_or_b64 exec, exec, s[10:11]
	s_and_saveexec_b64 s[10:11], s[4:5]
	s_cbranch_execz .LBB56_6
.LBB56_24:                              ;   in Loop: Header=BB56_7 Depth=2
	v_lshlrev_b64 v[19:20], 1, v[2:3]
	v_add_u32_e32 v18, s57, v8
	v_add_co_u32_e32 v21, vcc, s42, v19
	v_ashrrev_i32_e32 v19, 31, v18
	v_mov_b32_e32 v3, s43
	v_lshlrev_b64 v[18:19], 1, v[18:19]
	v_addc_co_u32_e32 v22, vcc, v3, v20, vcc
	v_mov_b32_e32 v3, s35
	v_add_co_u32_e32 v18, vcc, s34, v18
	v_addc_co_u32_e32 v19, vcc, v3, v19, vcc
	global_load_ushort v3, v[18:19], off
	s_nop 0
	global_load_ushort v18, v[21:22], off offset:16
	s_waitcnt vmcnt(1)
	v_lshlrev_b32_e32 v3, 16, v3
	s_waitcnt vmcnt(0)
	v_lshlrev_b32_e32 v18, 16, v18
	v_fmac_f32_e32 v11, v18, v3
	s_branch .LBB56_6
.LBB56_25:
	s_endpgm
	.section	.rodata,"a",@progbits
	.p2align	6, 0x0
	.amdhsa_kernel _ZN2at6native12_GLOBAL__N_132conv_depthwise2d_backward_kernelILi3ELi2EN3c108BFloat16EiEEvN5torch10headeronly6detail27GenericPackedTensorAccessorINS7_14TensorAccessorINS3_8ArrayRefIlEEKT1_Lm3ENS6_16DefaultPtrTraitsEiEENS_6detail16IndexBoundsCheckILm4EiEESD_Lm4ESE_iEENS8_INS9_ISB_SC_Lm3ESE_iEESI_SC_Lm4ESE_iEESJ_T2_iiiiiiiiiiiiiii
		.amdhsa_group_segment_fixed_size 0
		.amdhsa_private_segment_fixed_size 0
		.amdhsa_kernarg_size 440
		.amdhsa_user_sgpr_count 6
		.amdhsa_user_sgpr_private_segment_buffer 1
		.amdhsa_user_sgpr_dispatch_ptr 0
		.amdhsa_user_sgpr_queue_ptr 0
		.amdhsa_user_sgpr_kernarg_segment_ptr 1
		.amdhsa_user_sgpr_dispatch_id 0
		.amdhsa_user_sgpr_flat_scratch_init 0
		.amdhsa_user_sgpr_private_segment_size 0
		.amdhsa_uses_dynamic_stack 0
		.amdhsa_system_sgpr_private_segment_wavefront_offset 0
		.amdhsa_system_sgpr_workgroup_id_x 1
		.amdhsa_system_sgpr_workgroup_id_y 0
		.amdhsa_system_sgpr_workgroup_id_z 0
		.amdhsa_system_sgpr_workgroup_info 0
		.amdhsa_system_vgpr_workitem_id 0
		.amdhsa_next_free_vgpr 23
		.amdhsa_next_free_sgpr 76
		.amdhsa_reserve_vcc 1
		.amdhsa_reserve_flat_scratch 0
		.amdhsa_float_round_mode_32 0
		.amdhsa_float_round_mode_16_64 0
		.amdhsa_float_denorm_mode_32 3
		.amdhsa_float_denorm_mode_16_64 3
		.amdhsa_dx10_clamp 1
		.amdhsa_ieee_mode 1
		.amdhsa_fp16_overflow 0
		.amdhsa_exception_fp_ieee_invalid_op 0
		.amdhsa_exception_fp_denorm_src 0
		.amdhsa_exception_fp_ieee_div_zero 0
		.amdhsa_exception_fp_ieee_overflow 0
		.amdhsa_exception_fp_ieee_underflow 0
		.amdhsa_exception_fp_ieee_inexact 0
		.amdhsa_exception_int_div_zero 0
	.end_amdhsa_kernel
	.section	.text._ZN2at6native12_GLOBAL__N_132conv_depthwise2d_backward_kernelILi3ELi2EN3c108BFloat16EiEEvN5torch10headeronly6detail27GenericPackedTensorAccessorINS7_14TensorAccessorINS3_8ArrayRefIlEEKT1_Lm3ENS6_16DefaultPtrTraitsEiEENS_6detail16IndexBoundsCheckILm4EiEESD_Lm4ESE_iEENS8_INS9_ISB_SC_Lm3ESE_iEESI_SC_Lm4ESE_iEESJ_T2_iiiiiiiiiiiiiii,"axG",@progbits,_ZN2at6native12_GLOBAL__N_132conv_depthwise2d_backward_kernelILi3ELi2EN3c108BFloat16EiEEvN5torch10headeronly6detail27GenericPackedTensorAccessorINS7_14TensorAccessorINS3_8ArrayRefIlEEKT1_Lm3ENS6_16DefaultPtrTraitsEiEENS_6detail16IndexBoundsCheckILm4EiEESD_Lm4ESE_iEENS8_INS9_ISB_SC_Lm3ESE_iEESI_SC_Lm4ESE_iEESJ_T2_iiiiiiiiiiiiiii,comdat
.Lfunc_end56:
	.size	_ZN2at6native12_GLOBAL__N_132conv_depthwise2d_backward_kernelILi3ELi2EN3c108BFloat16EiEEvN5torch10headeronly6detail27GenericPackedTensorAccessorINS7_14TensorAccessorINS3_8ArrayRefIlEEKT1_Lm3ENS6_16DefaultPtrTraitsEiEENS_6detail16IndexBoundsCheckILm4EiEESD_Lm4ESE_iEENS8_INS9_ISB_SC_Lm3ESE_iEESI_SC_Lm4ESE_iEESJ_T2_iiiiiiiiiiiiiii, .Lfunc_end56-_ZN2at6native12_GLOBAL__N_132conv_depthwise2d_backward_kernelILi3ELi2EN3c108BFloat16EiEEvN5torch10headeronly6detail27GenericPackedTensorAccessorINS7_14TensorAccessorINS3_8ArrayRefIlEEKT1_Lm3ENS6_16DefaultPtrTraitsEiEENS_6detail16IndexBoundsCheckILm4EiEESD_Lm4ESE_iEENS8_INS9_ISB_SC_Lm3ESE_iEESI_SC_Lm4ESE_iEESJ_T2_iiiiiiiiiiiiiii
                                        ; -- End function
	.set _ZN2at6native12_GLOBAL__N_132conv_depthwise2d_backward_kernelILi3ELi2EN3c108BFloat16EiEEvN5torch10headeronly6detail27GenericPackedTensorAccessorINS7_14TensorAccessorINS3_8ArrayRefIlEEKT1_Lm3ENS6_16DefaultPtrTraitsEiEENS_6detail16IndexBoundsCheckILm4EiEESD_Lm4ESE_iEENS8_INS9_ISB_SC_Lm3ESE_iEESI_SC_Lm4ESE_iEESJ_T2_iiiiiiiiiiiiiii.num_vgpr, 23
	.set _ZN2at6native12_GLOBAL__N_132conv_depthwise2d_backward_kernelILi3ELi2EN3c108BFloat16EiEEvN5torch10headeronly6detail27GenericPackedTensorAccessorINS7_14TensorAccessorINS3_8ArrayRefIlEEKT1_Lm3ENS6_16DefaultPtrTraitsEiEENS_6detail16IndexBoundsCheckILm4EiEESD_Lm4ESE_iEENS8_INS9_ISB_SC_Lm3ESE_iEESI_SC_Lm4ESE_iEESJ_T2_iiiiiiiiiiiiiii.num_agpr, 0
	.set _ZN2at6native12_GLOBAL__N_132conv_depthwise2d_backward_kernelILi3ELi2EN3c108BFloat16EiEEvN5torch10headeronly6detail27GenericPackedTensorAccessorINS7_14TensorAccessorINS3_8ArrayRefIlEEKT1_Lm3ENS6_16DefaultPtrTraitsEiEENS_6detail16IndexBoundsCheckILm4EiEESD_Lm4ESE_iEENS8_INS9_ISB_SC_Lm3ESE_iEESI_SC_Lm4ESE_iEESJ_T2_iiiiiiiiiiiiiii.numbered_sgpr, 76
	.set _ZN2at6native12_GLOBAL__N_132conv_depthwise2d_backward_kernelILi3ELi2EN3c108BFloat16EiEEvN5torch10headeronly6detail27GenericPackedTensorAccessorINS7_14TensorAccessorINS3_8ArrayRefIlEEKT1_Lm3ENS6_16DefaultPtrTraitsEiEENS_6detail16IndexBoundsCheckILm4EiEESD_Lm4ESE_iEENS8_INS9_ISB_SC_Lm3ESE_iEESI_SC_Lm4ESE_iEESJ_T2_iiiiiiiiiiiiiii.num_named_barrier, 0
	.set _ZN2at6native12_GLOBAL__N_132conv_depthwise2d_backward_kernelILi3ELi2EN3c108BFloat16EiEEvN5torch10headeronly6detail27GenericPackedTensorAccessorINS7_14TensorAccessorINS3_8ArrayRefIlEEKT1_Lm3ENS6_16DefaultPtrTraitsEiEENS_6detail16IndexBoundsCheckILm4EiEESD_Lm4ESE_iEENS8_INS9_ISB_SC_Lm3ESE_iEESI_SC_Lm4ESE_iEESJ_T2_iiiiiiiiiiiiiii.private_seg_size, 0
	.set _ZN2at6native12_GLOBAL__N_132conv_depthwise2d_backward_kernelILi3ELi2EN3c108BFloat16EiEEvN5torch10headeronly6detail27GenericPackedTensorAccessorINS7_14TensorAccessorINS3_8ArrayRefIlEEKT1_Lm3ENS6_16DefaultPtrTraitsEiEENS_6detail16IndexBoundsCheckILm4EiEESD_Lm4ESE_iEENS8_INS9_ISB_SC_Lm3ESE_iEESI_SC_Lm4ESE_iEESJ_T2_iiiiiiiiiiiiiii.uses_vcc, 1
	.set _ZN2at6native12_GLOBAL__N_132conv_depthwise2d_backward_kernelILi3ELi2EN3c108BFloat16EiEEvN5torch10headeronly6detail27GenericPackedTensorAccessorINS7_14TensorAccessorINS3_8ArrayRefIlEEKT1_Lm3ENS6_16DefaultPtrTraitsEiEENS_6detail16IndexBoundsCheckILm4EiEESD_Lm4ESE_iEENS8_INS9_ISB_SC_Lm3ESE_iEESI_SC_Lm4ESE_iEESJ_T2_iiiiiiiiiiiiiii.uses_flat_scratch, 0
	.set _ZN2at6native12_GLOBAL__N_132conv_depthwise2d_backward_kernelILi3ELi2EN3c108BFloat16EiEEvN5torch10headeronly6detail27GenericPackedTensorAccessorINS7_14TensorAccessorINS3_8ArrayRefIlEEKT1_Lm3ENS6_16DefaultPtrTraitsEiEENS_6detail16IndexBoundsCheckILm4EiEESD_Lm4ESE_iEENS8_INS9_ISB_SC_Lm3ESE_iEESI_SC_Lm4ESE_iEESJ_T2_iiiiiiiiiiiiiii.has_dyn_sized_stack, 0
	.set _ZN2at6native12_GLOBAL__N_132conv_depthwise2d_backward_kernelILi3ELi2EN3c108BFloat16EiEEvN5torch10headeronly6detail27GenericPackedTensorAccessorINS7_14TensorAccessorINS3_8ArrayRefIlEEKT1_Lm3ENS6_16DefaultPtrTraitsEiEENS_6detail16IndexBoundsCheckILm4EiEESD_Lm4ESE_iEENS8_INS9_ISB_SC_Lm3ESE_iEESI_SC_Lm4ESE_iEESJ_T2_iiiiiiiiiiiiiii.has_recursion, 0
	.set _ZN2at6native12_GLOBAL__N_132conv_depthwise2d_backward_kernelILi3ELi2EN3c108BFloat16EiEEvN5torch10headeronly6detail27GenericPackedTensorAccessorINS7_14TensorAccessorINS3_8ArrayRefIlEEKT1_Lm3ENS6_16DefaultPtrTraitsEiEENS_6detail16IndexBoundsCheckILm4EiEESD_Lm4ESE_iEENS8_INS9_ISB_SC_Lm3ESE_iEESI_SC_Lm4ESE_iEESJ_T2_iiiiiiiiiiiiiii.has_indirect_call, 0
	.section	.AMDGPU.csdata,"",@progbits
; Kernel info:
; codeLenInByte = 2316
; TotalNumSgprs: 80
; NumVgprs: 23
; ScratchSize: 0
; MemoryBound: 0
; FloatMode: 240
; IeeeMode: 1
; LDSByteSize: 0 bytes/workgroup (compile time only)
; SGPRBlocks: 9
; VGPRBlocks: 5
; NumSGPRsForWavesPerEU: 80
; NumVGPRsForWavesPerEU: 23
; Occupancy: 10
; WaveLimiterHint : 0
; COMPUTE_PGM_RSRC2:SCRATCH_EN: 0
; COMPUTE_PGM_RSRC2:USER_SGPR: 6
; COMPUTE_PGM_RSRC2:TRAP_HANDLER: 0
; COMPUTE_PGM_RSRC2:TGID_X_EN: 1
; COMPUTE_PGM_RSRC2:TGID_Y_EN: 0
; COMPUTE_PGM_RSRC2:TGID_Z_EN: 0
; COMPUTE_PGM_RSRC2:TIDIG_COMP_CNT: 0
	.section	.text._ZN2at6native12_GLOBAL__N_132conv_depthwise2d_backward_kernelILi3ELi0EN3c108BFloat16EiEEvN5torch10headeronly6detail27GenericPackedTensorAccessorINS7_14TensorAccessorINS3_8ArrayRefIlEEKT1_Lm3ENS6_16DefaultPtrTraitsEiEENS_6detail16IndexBoundsCheckILm4EiEESD_Lm4ESE_iEENS8_INS9_ISB_SC_Lm3ESE_iEESI_SC_Lm4ESE_iEESJ_T2_iiiiiiiiiiiiiii,"axG",@progbits,_ZN2at6native12_GLOBAL__N_132conv_depthwise2d_backward_kernelILi3ELi0EN3c108BFloat16EiEEvN5torch10headeronly6detail27GenericPackedTensorAccessorINS7_14TensorAccessorINS3_8ArrayRefIlEEKT1_Lm3ENS6_16DefaultPtrTraitsEiEENS_6detail16IndexBoundsCheckILm4EiEESD_Lm4ESE_iEENS8_INS9_ISB_SC_Lm3ESE_iEESI_SC_Lm4ESE_iEESJ_T2_iiiiiiiiiiiiiii,comdat
	.globl	_ZN2at6native12_GLOBAL__N_132conv_depthwise2d_backward_kernelILi3ELi0EN3c108BFloat16EiEEvN5torch10headeronly6detail27GenericPackedTensorAccessorINS7_14TensorAccessorINS3_8ArrayRefIlEEKT1_Lm3ENS6_16DefaultPtrTraitsEiEENS_6detail16IndexBoundsCheckILm4EiEESD_Lm4ESE_iEENS8_INS9_ISB_SC_Lm3ESE_iEESI_SC_Lm4ESE_iEESJ_T2_iiiiiiiiiiiiiii ; -- Begin function _ZN2at6native12_GLOBAL__N_132conv_depthwise2d_backward_kernelILi3ELi0EN3c108BFloat16EiEEvN5torch10headeronly6detail27GenericPackedTensorAccessorINS7_14TensorAccessorINS3_8ArrayRefIlEEKT1_Lm3ENS6_16DefaultPtrTraitsEiEENS_6detail16IndexBoundsCheckILm4EiEESD_Lm4ESE_iEENS8_INS9_ISB_SC_Lm3ESE_iEESI_SC_Lm4ESE_iEESJ_T2_iiiiiiiiiiiiiii
	.p2align	8
	.type	_ZN2at6native12_GLOBAL__N_132conv_depthwise2d_backward_kernelILi3ELi0EN3c108BFloat16EiEEvN5torch10headeronly6detail27GenericPackedTensorAccessorINS7_14TensorAccessorINS3_8ArrayRefIlEEKT1_Lm3ENS6_16DefaultPtrTraitsEiEENS_6detail16IndexBoundsCheckILm4EiEESD_Lm4ESE_iEENS8_INS9_ISB_SC_Lm3ESE_iEESI_SC_Lm4ESE_iEESJ_T2_iiiiiiiiiiiiiii,@function
_ZN2at6native12_GLOBAL__N_132conv_depthwise2d_backward_kernelILi3ELi0EN3c108BFloat16EiEEvN5torch10headeronly6detail27GenericPackedTensorAccessorINS7_14TensorAccessorINS3_8ArrayRefIlEEKT1_Lm3ENS6_16DefaultPtrTraitsEiEENS_6detail16IndexBoundsCheckILm4EiEESD_Lm4ESE_iEENS8_INS9_ISB_SC_Lm3ESE_iEESI_SC_Lm4ESE_iEESJ_T2_iiiiiiiiiiiiiii: ; @_ZN2at6native12_GLOBAL__N_132conv_depthwise2d_backward_kernelILi3ELi0EN3c108BFloat16EiEEvN5torch10headeronly6detail27GenericPackedTensorAccessorINS7_14TensorAccessorINS3_8ArrayRefIlEEKT1_Lm3ENS6_16DefaultPtrTraitsEiEENS_6detail16IndexBoundsCheckILm4EiEESD_Lm4ESE_iEENS8_INS9_ISB_SC_Lm3ESE_iEESI_SC_Lm4ESE_iEESJ_T2_iiiiiiiiiiiiiii
; %bb.0:
	s_load_dword s2, s[4:5], 0xc4
	s_load_dwordx16 s[36:51], s[4:5], 0x78
	s_add_u32 s0, s4, 0xb8
	s_addc_u32 s1, s5, 0
	v_mov_b32_e32 v1, 0
	s_waitcnt lgkmcnt(0)
	s_and_b32 s2, s2, 0xffff
	v_mov_b32_e32 v2, s6
	v_mad_u64_u32 v[0:1], s[6:7], s2, v2, v[0:1]
	s_ashr_i32 s29, s36, 31
	s_mov_b32 s28, s36
	v_cmp_gt_i64_e32 vcc, s[28:29], v[0:1]
	s_and_saveexec_b64 s[6:7], vcc
	s_cbranch_execz .LBB57_77
; %bb.1:
	s_cmp_gt_i32 s38, 0
	s_load_dword s3, s[0:1], 0x0
	s_cselect_b64 s[0:1], -1, 0
	s_abs_i32 s33, s40
	v_cvt_f32_u32_e32 v2, s33
	s_abs_i32 s36, s41
	v_cvt_f32_u32_e32 v3, s36
	s_abs_i32 s80, s37
	v_rcp_iflag_f32_e32 v2, v2
	s_waitcnt lgkmcnt(0)
	s_mul_i32 s78, s3, s2
	v_rcp_iflag_f32_e32 v3, v3
	s_sub_i32 s2, 0, s33
	v_mul_f32_e32 v2, 0x4f7ffffe, v2
	v_cvt_u32_f32_e32 v2, v2
	v_mul_f32_e32 v3, 0x4f7ffffe, v3
	v_cvt_f32_u32_e32 v5, s80
	v_cvt_u32_f32_e32 v3, v3
	v_mul_lo_u32 v4, s2, v2
	s_sub_i32 s2, 0, s36
	v_rcp_iflag_f32_e32 v5, v5
	v_mul_lo_u32 v6, s2, v3
	v_mul_hi_u32 v4, v2, v4
	s_abs_i32 s82, s47
	v_mul_f32_e32 v5, 0x4f7ffffe, v5
	s_abs_i32 s83, s46
	v_add_u32_e32 v4, v2, v4
	v_mul_hi_u32 v2, v3, v6
	v_cvt_u32_f32_e32 v6, v5
	v_cvt_f32_u32_e32 v5, s82
	v_cvt_f32_u32_e32 v7, s83
	s_sub_i32 s2, 0, s80
	v_mul_lo_u32 v8, s2, v6
	v_rcp_iflag_f32_e32 v9, v5
	v_add_u32_e32 v5, v3, v2
	v_rcp_iflag_f32_e32 v2, v7
	s_sub_i32 s2, 0, s82
	v_mul_f32_e32 v7, 0x4f7ffffe, v9
	v_cvt_u32_f32_e32 v7, v7
	v_mul_f32_e32 v2, 0x4f7ffffe, v2
	v_cvt_u32_f32_e32 v2, v2
	v_mul_hi_u32 v3, v6, v8
	v_mul_lo_u32 v8, s2, v7
	s_sub_i32 s2, 0, s83
	v_mul_lo_u32 v9, s2, v2
	s_load_dwordx2 s[30:31], s[4:5], 0x0
	s_load_dwordx2 s[34:35], s[4:5], 0x28
	;; [unrolled: 1-line block ×3, first 2 shown]
	v_mul_hi_u32 v8, v7, v8
	v_add_u32_e32 v6, v6, v3
	v_mul_hi_u32 v3, v2, v9
	s_mul_i32 s87, s45, s44
	v_add_u32_e32 v7, v7, v8
	s_ashr_i32 s79, s40, 31
	v_add_u32_e32 v8, v2, v3
	v_cndmask_b32_e64 v2, 0, 1, s[0:1]
	s_ashr_i32 s81, s41, 31
	s_ashr_i32 s84, s37, 31
	;; [unrolled: 1-line block ×4, first 2 shown]
	s_mul_i32 s88, s87, s38
	s_mul_i32 s89, s43, s42
	s_mov_b64 s[44:45], 0
	v_cmp_ne_u32_e64 s[0:1], 1, v2
	s_movk_i32 s90, 0x7fff
	v_mov_b32_e32 v9, 0x7fc0
	s_branch .LBB57_4
.LBB57_2:                               ;   in Loop: Header=BB57_4 Depth=1
	v_mov_b32_e32 v15, 0
.LBB57_3:                               ;   in Loop: Header=BB57_4 Depth=1
	v_bfe_u32 v2, v15, 16, 1
	v_add3_u32 v2, v15, v2, s90
	v_cmp_o_f32_e32 vcc, v15, v15
	v_cndmask_b32_sdwa v10, v9, v2, vcc dst_sel:DWORD dst_unused:UNUSED_PAD src0_sel:DWORD src1_sel:WORD_1
	v_lshlrev_b64 v[2:3], 1, v[0:1]
	v_add_co_u32_e32 v0, vcc, s78, v0
	v_addc_co_u32_e32 v1, vcc, 0, v1, vcc
	v_cmp_le_i64_e32 vcc, s[28:29], v[0:1]
	s_waitcnt lgkmcnt(0)
	v_mov_b32_e32 v11, s35
	v_add_co_u32_e64 v2, s[2:3], s34, v2
	v_addc_co_u32_e64 v3, s[2:3], v11, v3, s[2:3]
	s_or_b64 s[44:45], vcc, s[44:45]
	global_store_short v[2:3], v10, off
	s_andn2_b64 exec, exec, s[44:45]
	s_cbranch_execz .LBB57_77
.LBB57_4:                               ; =>This Loop Header: Depth=1
                                        ;     Child Loop BB57_9 Depth 2
	s_and_b64 vcc, exec, s[0:1]
	s_cbranch_vccnz .LBB57_2
; %bb.5:                                ;   in Loop: Header=BB57_4 Depth=1
	v_sub_u32_e32 v2, 0, v0
	v_max_i32_e32 v2, v0, v2
	v_mul_hi_u32 v3, v2, v4
	v_ashrrev_i32_e32 v11, 31, v0
	v_xor_b32_e32 v11, s79, v11
	s_mov_b32 s91, 0
	v_mul_lo_u32 v10, v3, s33
	v_add_u32_e32 v12, 1, v3
	s_mov_b32 s92, s38
	v_sub_u32_e32 v2, v2, v10
	v_subrev_u32_e32 v10, s33, v2
	v_cmp_le_u32_e32 vcc, s33, v2
	v_cndmask_b32_e32 v3, v3, v12, vcc
	v_cndmask_b32_e32 v2, v2, v10, vcc
	v_add_u32_e32 v10, 1, v3
	v_cmp_le_u32_e32 vcc, s33, v2
	v_cndmask_b32_e32 v2, v3, v10, vcc
	v_xor_b32_e32 v2, v2, v11
	v_sub_u32_e32 v12, v2, v11
	v_sub_u32_e32 v2, 0, v12
	v_max_i32_e32 v2, v12, v2
	v_mul_hi_u32 v3, v2, v5
	v_ashrrev_i32_e32 v11, 31, v12
	v_xor_b32_e32 v11, s81, v11
	v_mul_lo_u32 v10, v3, s36
	v_add_u32_e32 v13, 1, v3
	v_sub_u32_e32 v2, v2, v10
	v_subrev_u32_e32 v10, s36, v2
	v_cmp_le_u32_e32 vcc, s36, v2
	v_cndmask_b32_e32 v3, v3, v13, vcc
	v_cndmask_b32_e32 v2, v2, v10, vcc
	v_add_u32_e32 v10, 1, v3
	v_cmp_le_u32_e32 vcc, s36, v2
	v_cndmask_b32_e32 v2, v3, v10, vcc
	v_xor_b32_e32 v2, v2, v11
	v_sub_u32_e32 v2, v2, v11
	v_sub_u32_e32 v3, 0, v2
	v_max_i32_e32 v3, v2, v3
	v_mul_hi_u32 v10, v3, v6
	v_mul_lo_u32 v14, v2, s41
	v_ashrrev_i32_e32 v11, 31, v2
	v_xor_b32_e32 v11, s84, v11
	v_mul_lo_u32 v13, v10, s80
	v_add_u32_e32 v15, 1, v10
	v_sub_u32_e32 v3, v3, v13
	v_subrev_u32_e32 v13, s80, v3
	v_cmp_le_u32_e32 vcc, s80, v3
	v_cndmask_b32_e32 v3, v3, v13, vcc
	v_add_u32_e32 v13, s49, v12
	v_cndmask_b32_e32 v10, v10, v15, vcc
	v_sub_u32_e32 v15, v13, v14
	v_sub_u32_e32 v16, 0, v15
	v_max_i32_e32 v16, v15, v16
	v_mul_hi_u32 v17, v16, v7
	v_add_u32_e32 v18, 1, v10
	v_cmp_le_u32_e32 vcc, s80, v3
	v_cndmask_b32_e32 v3, v10, v18, vcc
	v_mul_lo_u32 v10, v17, s82
	v_xor_b32_e32 v3, v3, v11
	v_sub_u32_e32 v11, v3, v11
	v_add_u32_e32 v14, s51, v14
	v_sub_u32_e32 v3, v16, v10
	v_add_u32_e32 v10, 1, v17
	v_cmp_le_u32_e32 vcc, s82, v3
	v_subrev_u32_e32 v16, s82, v3
	v_cndmask_b32_e32 v10, v17, v10, vcc
	v_cndmask_b32_e32 v16, v3, v16, vcc
	v_ashrrev_i32_e32 v3, 31, v15
	v_add_u32_e32 v17, 1, v10
	v_cmp_le_u32_e32 vcc, s82, v16
	v_sub_u32_e32 v22, v13, v14
	v_xor_b32_e32 v3, s85, v3
	v_cndmask_b32_e32 v10, v10, v17, vcc
	v_sub_u32_e32 v17, 0, v22
	v_xor_b32_e32 v10, v10, v3
	v_max_i32_e32 v17, v22, v17
	v_sub_u32_e32 v21, v10, v3
	v_mul_hi_u32 v19, v17, v7
	v_mul_lo_u32 v16, v21, s47
	v_mul_lo_u32 v18, v11, s37
	;; [unrolled: 1-line block ×4, first 2 shown]
	v_add_u32_e32 v14, s51, v14
	v_sub_u32_e32 v15, v15, v16
	v_add_u32_e32 v16, s48, v0
	v_sub_u32_e32 v23, v13, v14
	v_sub_u32_e32 v2, v2, v18
	;; [unrolled: 1-line block ×3, first 2 shown]
	v_add_u32_e32 v12, s50, v12
	v_sub_u32_e32 v13, 0, v23
	v_cmp_eq_u32_e32 vcc, 0, v15
	v_sub_u32_e32 v15, v16, v12
	v_add_u32_e32 v12, s50, v12
	v_max_i32_e32 v24, v23, v13
	v_sub_u32_e32 v12, v16, v12
	v_sub_u32_e32 v16, v17, v20
	v_mul_hi_u32 v25, v24, v7
	v_add_u32_e32 v17, 1, v19
	v_cmp_le_u32_e64 s[2:3], s82, v16
	v_cndmask_b32_e64 v17, v19, v17, s[2:3]
	v_subrev_u32_e32 v19, s82, v16
	v_cndmask_b32_e64 v16, v16, v19, s[2:3]
	v_cmp_le_u32_e64 s[2:3], s82, v16
	v_mul_lo_u32 v16, v25, s82
	v_add_u32_e32 v19, 1, v17
	v_cndmask_b32_e64 v14, v17, v19, s[2:3]
	v_add_u32_e32 v17, 1, v25
	v_sub_u32_e32 v16, v24, v16
	v_cmp_le_u32_e64 s[2:3], s82, v16
	v_subrev_u32_e32 v19, s82, v16
	v_ashrrev_i32_e32 v13, 31, v22
	v_cndmask_b32_e64 v17, v25, v17, s[2:3]
	v_cndmask_b32_e64 v16, v16, v19, s[2:3]
	v_xor_b32_e32 v13, s85, v13
	v_add_u32_e32 v19, 1, v17
	v_cmp_le_u32_e64 s[2:3], s82, v16
	v_xor_b32_e32 v14, v14, v13
	v_cndmask_b32_e64 v17, v17, v19, s[2:3]
	v_sub_u32_e32 v19, 0, v18
	v_sub_u32_e32 v20, v14, v13
	v_ashrrev_i32_e32 v16, 31, v23
	v_max_i32_e32 v24, v18, v19
	v_mul_lo_u32 v26, v20, s47
	v_xor_b32_e32 v16, s85, v16
	v_mul_hi_u32 v25, v24, v8
	v_xor_b32_e32 v17, v17, v16
	v_sub_u32_e32 v19, v17, v16
	v_mul_lo_u32 v27, v19, s47
	v_sub_u32_e32 v22, v22, v26
	v_mul_lo_u32 v26, v25, s83
	v_cmp_eq_u32_e64 s[2:3], 0, v22
	v_sub_u32_e32 v22, v23, v27
	v_cmp_eq_u32_e64 s[4:5], 0, v22
	v_sub_u32_e32 v22, v24, v26
	v_subrev_u32_e32 v23, s83, v22
	v_cmp_le_u32_e64 s[10:11], s83, v22
	v_cndmask_b32_e64 v22, v22, v23, s[10:11]
	v_subrev_u32_e32 v23, s83, v22
	v_cmp_le_u32_e64 s[14:15], s83, v22
	v_cndmask_b32_e64 v22, v22, v23, s[14:15]
	v_ashrrev_i32_e32 v23, 31, v18
	v_xor_b32_e32 v22, v22, v23
	v_sub_u32_e32 v22, v22, v23
	v_cmp_eq_u32_e64 s[6:7], 0, v22
	v_sub_u32_e32 v22, 0, v15
	v_max_i32_e32 v22, v15, v22
	v_mul_hi_u32 v24, v22, v8
	v_cmp_lt_i32_e64 s[8:9], -1, v21
	v_cmp_gt_i32_e64 s[12:13], s43, v21
	v_add_u32_e32 v21, 1, v25
	v_mul_lo_u32 v26, v24, s83
	v_cndmask_b32_e64 v21, v25, v21, s[10:11]
	v_add_u32_e32 v25, 1, v21
	v_cndmask_b32_e64 v25, v21, v25, s[14:15]
	v_sub_u32_e32 v21, v22, v26
	v_sub_u32_e32 v26, 0, v12
	v_max_i32_e32 v26, v12, v26
	v_mul_hi_u32 v27, v26, v8
	v_subrev_u32_e32 v22, s83, v21
	v_cmp_le_u32_e64 s[10:11], s83, v21
	v_cndmask_b32_e64 v21, v21, v22, s[10:11]
	v_subrev_u32_e32 v22, s83, v21
	v_cmp_le_u32_e64 s[14:15], s83, v21
	v_cndmask_b32_e64 v28, v21, v22, s[14:15]
	v_mul_lo_u32 v22, v27, s83
	v_add_u32_e32 v21, 1, v24
	v_cndmask_b32_e64 v21, v24, v21, s[10:11]
	v_add_u32_e32 v24, 1, v21
	v_cndmask_b32_e64 v29, v21, v24, s[14:15]
	v_sub_u32_e32 v21, v26, v22
	v_subrev_u32_e32 v22, s83, v21
	v_cmp_le_u32_e64 s[10:11], s83, v21
	v_cndmask_b32_e64 v21, v21, v22, s[10:11]
	v_subrev_u32_e32 v22, s83, v21
	v_cmp_le_u32_e64 s[14:15], s83, v21
	v_cndmask_b32_e64 v26, v21, v22, s[14:15]
	v_add_u32_e32 v21, 1, v27
	v_cndmask_b32_e64 v21, v27, v21, s[10:11]
	v_add_u32_e32 v22, 1, v21
	v_cndmask_b32_e64 v27, v21, v22, s[14:15]
	v_xor_b32_e32 v21, s86, v23
	v_xor_b32_e32 v22, v25, v21
	v_sub_u32_e32 v23, v22, v21
	v_mul_lo_u32 v24, v23, s46
	v_cmp_lt_i32_e64 s[14:15], -1, v23
	v_cmp_gt_i32_e64 s[16:17], s42, v23
	v_mul_lo_u32 v11, v11, s39
	v_sub_u32_e32 v23, v18, v24
	v_ashrrev_i32_e32 v18, 31, v15
	v_xor_b32_e32 v25, s86, v18
	v_xor_b32_e32 v24, v28, v18
	;; [unrolled: 1-line block ×3, first 2 shown]
	v_sub_u32_e32 v24, v24, v18
	v_sub_u32_e32 v18, v28, v25
	v_cmp_lt_i32_e64 s[18:19], -1, v18
	v_cmp_gt_i32_e64 s[20:21], s42, v18
	v_mul_lo_u32 v18, v18, s46
	v_cmp_lt_i32_e64 s[10:11], -1, v19
	v_cmp_gt_i32_e64 s[22:23], s43, v19
	s_and_b64 s[60:61], s[14:15], s[16:17]
	v_sub_u32_e32 v29, v15, v18
	v_mad_u64_u32 v[18:19], s[24:25], v2, s38, v[11:12]
	v_ashrrev_i32_e32 v15, 31, v12
	v_xor_b32_e32 v26, v26, v15
	v_sub_u32_e32 v26, v26, v15
	v_xor_b32_e32 v15, s86, v15
	v_mul_lo_u32 v11, s43, v18
	v_xor_b32_e32 v19, v27, v15
	v_sub_u32_e32 v18, v19, v15
	v_cmp_lt_i32_e64 s[24:25], -1, v18
	v_cmp_gt_i32_e64 s[26:27], s42, v18
	v_mul_lo_u32 v18, v18, s46
	v_add_u32_e32 v17, v17, v11
	v_sub_u32_e32 v16, v17, v16
	v_add_u32_e32 v14, v14, v11
	v_add_u32_e32 v10, v10, v11
	s_and_b64 s[62:63], s[18:19], s[20:21]
	s_and_b64 s[64:65], s[24:25], s[26:27]
	v_mul_lo_u32 v17, s42, v16
	v_sub_u32_e32 v13, v14, v13
	v_sub_u32_e32 v3, v10, v3
	s_and_b64 s[54:55], s[12:13], s[60:61]
	s_and_b64 s[56:57], s[12:13], s[62:63]
	;; [unrolled: 1-line block ×3, first 2 shown]
	v_cmp_gt_i32_e64 s[12:13], s43, v20
	v_sub_u32_e32 v12, v12, v18
	v_mul_lo_u32 v18, s42, v13
	v_mul_lo_u32 v3, s42, v3
	s_and_b64 s[60:61], s[12:13], s[60:61]
	s_and_b64 s[62:63], s[12:13], s[62:63]
	;; [unrolled: 1-line block ×7, first 2 shown]
	v_cmp_eq_u32_e64 s[12:13], 0, v12
	v_add_u32_e32 v12, v19, v17
	v_add_u32_e32 v13, v19, v18
	v_sub_u32_e32 v10, v12, v15
	v_add_u32_e32 v12, v19, v3
	v_mul_lo_u32 v2, s88, v2
	v_add_u32_e32 v14, v28, v17
	v_sub_u32_e32 v11, v13, v15
	v_add_u32_e32 v16, v28, v18
	v_sub_u32_e32 v12, v12, v15
	v_add_u32_e32 v15, v28, v3
	s_and_b64 s[14:15], s[26:27], s[22:23]
	v_sub_u32_e32 v13, v14, v25
	v_sub_u32_e32 v14, v16, v25
	;; [unrolled: 1-line block ×3, first 2 shown]
	v_add_u32_e32 v15, v22, v17
	v_add_u32_e32 v18, v22, v18
	;; [unrolled: 1-line block ×3, first 2 shown]
	s_and_b64 s[24:25], s[14:15], s[24:25]
	v_sub_u32_e32 v17, v15, v21
	v_sub_u32_e32 v18, v18, v21
	;; [unrolled: 1-line block ×3, first 2 shown]
	v_mov_b32_e32 v15, 0
	s_and_b64 s[26:27], s[12:13], s[10:11]
	v_cmp_eq_u32_e64 s[12:13], 0, v24
	v_cmp_eq_u32_e64 s[14:15], 0, v26
	v_cmp_lt_i32_e64 s[16:17], -1, v20
	v_cmp_eq_u32_e64 s[18:19], 0, v23
	v_cmp_eq_u32_e64 s[20:21], 0, v29
	s_branch .LBB57_9
.LBB57_6:                               ;   in Loop: Header=BB57_9 Depth=2
	s_or_b64 exec, exec, s[74:75]
.LBB57_7:                               ;   in Loop: Header=BB57_9 Depth=2
	s_or_b64 exec, exec, s[72:73]
.LBB57_8:                               ;   in Loop: Header=BB57_9 Depth=2
	s_or_b64 exec, exec, s[70:71]
	s_add_i32 s92, s92, -1
	s_add_i32 s91, s91, s89
	s_cmp_eq_u32 s92, 0
	v_add_u32_e32 v2, s87, v2
	s_cbranch_scc1 .LBB57_3
.LBB57_9:                               ;   Parent Loop BB57_4 Depth=1
                                        ; =>  This Inner Loop Header: Depth=2
	s_and_saveexec_b64 s[70:71], vcc
	s_cbranch_execnz .LBB57_18
; %bb.10:                               ;   in Loop: Header=BB57_9 Depth=2
	s_or_b64 exec, exec, s[70:71]
	s_and_saveexec_b64 s[70:71], vcc
	s_cbranch_execnz .LBB57_25
.LBB57_11:                              ;   in Loop: Header=BB57_9 Depth=2
	s_or_b64 exec, exec, s[70:71]
	s_and_saveexec_b64 s[70:71], vcc
	s_cbranch_execnz .LBB57_32
.LBB57_12:                              ;   in Loop: Header=BB57_9 Depth=2
	s_or_b64 exec, exec, s[70:71]
	s_and_saveexec_b64 s[70:71], s[2:3]
	s_cbranch_execnz .LBB57_39
.LBB57_13:                              ;   in Loop: Header=BB57_9 Depth=2
	s_or_b64 exec, exec, s[70:71]
	s_and_saveexec_b64 s[70:71], s[2:3]
	s_cbranch_execnz .LBB57_46
.LBB57_14:                              ;   in Loop: Header=BB57_9 Depth=2
	s_or_b64 exec, exec, s[70:71]
	s_and_saveexec_b64 s[70:71], s[2:3]
	s_cbranch_execnz .LBB57_53
.LBB57_15:                              ;   in Loop: Header=BB57_9 Depth=2
	s_or_b64 exec, exec, s[70:71]
	s_and_saveexec_b64 s[70:71], s[4:5]
	s_cbranch_execnz .LBB57_60
.LBB57_16:                              ;   in Loop: Header=BB57_9 Depth=2
	s_or_b64 exec, exec, s[70:71]
	s_and_saveexec_b64 s[70:71], s[4:5]
	s_cbranch_execnz .LBB57_67
.LBB57_17:                              ;   in Loop: Header=BB57_9 Depth=2
	s_or_b64 exec, exec, s[70:71]
	s_and_saveexec_b64 s[70:71], s[4:5]
	s_cbranch_execz .LBB57_8
	s_branch .LBB57_74
.LBB57_18:                              ;   in Loop: Header=BB57_9 Depth=2
	s_and_saveexec_b64 s[72:73], s[6:7]
	s_cbranch_execz .LBB57_24
; %bb.19:                               ;   in Loop: Header=BB57_9 Depth=2
	s_and_saveexec_b64 s[74:75], s[8:9]
	s_cbranch_execz .LBB57_23
; %bb.20:                               ;   in Loop: Header=BB57_9 Depth=2
	;; [unrolled: 3-line block ×3, first 2 shown]
	v_ashrrev_i32_e32 v3, 31, v2
	v_lshlrev_b64 v[21:22], 1, v[2:3]
	v_add_u32_e32 v20, s91, v19
	s_waitcnt lgkmcnt(0)
	v_add_co_u32_e64 v23, s[22:23], s52, v21
	v_ashrrev_i32_e32 v21, 31, v20
	v_mov_b32_e32 v3, s53
	v_lshlrev_b64 v[20:21], 1, v[20:21]
	v_addc_co_u32_e64 v24, s[22:23], v3, v22, s[22:23]
	v_mov_b32_e32 v3, s31
	v_add_co_u32_e64 v20, s[22:23], s30, v20
	v_addc_co_u32_e64 v21, s[22:23], v3, v21, s[22:23]
	global_load_ushort v3, v[20:21], off
	s_nop 0
	global_load_ushort v20, v[23:24], off
	s_waitcnt vmcnt(1)
	v_lshlrev_b32_e32 v3, 16, v3
	s_waitcnt vmcnt(0)
	v_lshlrev_b32_e32 v20, 16, v20
	v_fmac_f32_e32 v15, v20, v3
.LBB57_22:                              ;   in Loop: Header=BB57_9 Depth=2
	s_or_b64 exec, exec, s[76:77]
.LBB57_23:                              ;   in Loop: Header=BB57_9 Depth=2
	s_or_b64 exec, exec, s[74:75]
.LBB57_24:                              ;   in Loop: Header=BB57_9 Depth=2
	s_or_b64 exec, exec, s[72:73]
	s_or_b64 exec, exec, s[70:71]
	s_and_saveexec_b64 s[70:71], vcc
	s_cbranch_execz .LBB57_11
.LBB57_25:                              ;   in Loop: Header=BB57_9 Depth=2
	s_and_saveexec_b64 s[72:73], s[12:13]
	s_cbranch_execz .LBB57_31
; %bb.26:                               ;   in Loop: Header=BB57_9 Depth=2
	s_and_saveexec_b64 s[74:75], s[8:9]
	s_cbranch_execz .LBB57_30
; %bb.27:                               ;   in Loop: Header=BB57_9 Depth=2
	;; [unrolled: 3-line block ×3, first 2 shown]
	v_ashrrev_i32_e32 v3, 31, v2
	v_lshlrev_b64 v[21:22], 1, v[2:3]
	v_add_u32_e32 v20, s91, v16
	s_waitcnt lgkmcnt(0)
	v_add_co_u32_e64 v23, s[22:23], s52, v21
	v_ashrrev_i32_e32 v21, 31, v20
	v_mov_b32_e32 v3, s53
	v_lshlrev_b64 v[20:21], 1, v[20:21]
	v_addc_co_u32_e64 v24, s[22:23], v3, v22, s[22:23]
	v_mov_b32_e32 v3, s31
	v_add_co_u32_e64 v20, s[22:23], s30, v20
	v_addc_co_u32_e64 v21, s[22:23], v3, v21, s[22:23]
	global_load_ushort v3, v[20:21], off
	s_nop 0
	global_load_ushort v20, v[23:24], off offset:2
	s_waitcnt vmcnt(1)
	v_lshlrev_b32_e32 v3, 16, v3
	s_waitcnt vmcnt(0)
	v_lshlrev_b32_e32 v20, 16, v20
	v_fmac_f32_e32 v15, v20, v3
.LBB57_29:                              ;   in Loop: Header=BB57_9 Depth=2
	s_or_b64 exec, exec, s[76:77]
.LBB57_30:                              ;   in Loop: Header=BB57_9 Depth=2
	s_or_b64 exec, exec, s[74:75]
.LBB57_31:                              ;   in Loop: Header=BB57_9 Depth=2
	s_or_b64 exec, exec, s[72:73]
	s_or_b64 exec, exec, s[70:71]
	s_and_saveexec_b64 s[70:71], vcc
	s_cbranch_execz .LBB57_12
.LBB57_32:                              ;   in Loop: Header=BB57_9 Depth=2
	s_and_saveexec_b64 s[72:73], s[14:15]
	s_cbranch_execz .LBB57_38
; %bb.33:                               ;   in Loop: Header=BB57_9 Depth=2
	s_and_saveexec_b64 s[74:75], s[8:9]
	s_cbranch_execz .LBB57_37
; %bb.34:                               ;   in Loop: Header=BB57_9 Depth=2
	;; [unrolled: 3-line block ×3, first 2 shown]
	v_ashrrev_i32_e32 v3, 31, v2
	v_lshlrev_b64 v[21:22], 1, v[2:3]
	v_add_u32_e32 v20, s91, v12
	s_waitcnt lgkmcnt(0)
	v_add_co_u32_e64 v23, s[22:23], s52, v21
	v_ashrrev_i32_e32 v21, 31, v20
	v_mov_b32_e32 v3, s53
	v_lshlrev_b64 v[20:21], 1, v[20:21]
	v_addc_co_u32_e64 v24, s[22:23], v3, v22, s[22:23]
	v_mov_b32_e32 v3, s31
	v_add_co_u32_e64 v20, s[22:23], s30, v20
	v_addc_co_u32_e64 v21, s[22:23], v3, v21, s[22:23]
	global_load_ushort v3, v[20:21], off
	s_nop 0
	global_load_ushort v20, v[23:24], off offset:4
	s_waitcnt vmcnt(1)
	v_lshlrev_b32_e32 v3, 16, v3
	s_waitcnt vmcnt(0)
	v_lshlrev_b32_e32 v20, 16, v20
	v_fmac_f32_e32 v15, v20, v3
.LBB57_36:                              ;   in Loop: Header=BB57_9 Depth=2
	s_or_b64 exec, exec, s[76:77]
.LBB57_37:                              ;   in Loop: Header=BB57_9 Depth=2
	s_or_b64 exec, exec, s[74:75]
.LBB57_38:                              ;   in Loop: Header=BB57_9 Depth=2
	s_or_b64 exec, exec, s[72:73]
	s_or_b64 exec, exec, s[70:71]
	s_and_saveexec_b64 s[70:71], s[2:3]
	s_cbranch_execz .LBB57_13
.LBB57_39:                              ;   in Loop: Header=BB57_9 Depth=2
	s_and_saveexec_b64 s[72:73], s[6:7]
	s_cbranch_execz .LBB57_45
; %bb.40:                               ;   in Loop: Header=BB57_9 Depth=2
	s_and_saveexec_b64 s[74:75], s[16:17]
	s_cbranch_execz .LBB57_44
; %bb.41:                               ;   in Loop: Header=BB57_9 Depth=2
	;; [unrolled: 3-line block ×3, first 2 shown]
	v_ashrrev_i32_e32 v3, 31, v2
	v_lshlrev_b64 v[21:22], 1, v[2:3]
	v_add_u32_e32 v20, s91, v18
	s_waitcnt lgkmcnt(0)
	v_add_co_u32_e64 v23, s[22:23], s52, v21
	v_ashrrev_i32_e32 v21, 31, v20
	v_mov_b32_e32 v3, s53
	v_lshlrev_b64 v[20:21], 1, v[20:21]
	v_addc_co_u32_e64 v24, s[22:23], v3, v22, s[22:23]
	v_mov_b32_e32 v3, s31
	v_add_co_u32_e64 v20, s[22:23], s30, v20
	v_addc_co_u32_e64 v21, s[22:23], v3, v21, s[22:23]
	global_load_ushort v3, v[20:21], off
	s_nop 0
	global_load_ushort v20, v[23:24], off offset:6
	s_waitcnt vmcnt(1)
	v_lshlrev_b32_e32 v3, 16, v3
	s_waitcnt vmcnt(0)
	v_lshlrev_b32_e32 v20, 16, v20
	v_fmac_f32_e32 v15, v20, v3
.LBB57_43:                              ;   in Loop: Header=BB57_9 Depth=2
	s_or_b64 exec, exec, s[76:77]
.LBB57_44:                              ;   in Loop: Header=BB57_9 Depth=2
	s_or_b64 exec, exec, s[74:75]
.LBB57_45:                              ;   in Loop: Header=BB57_9 Depth=2
	s_or_b64 exec, exec, s[72:73]
	s_or_b64 exec, exec, s[70:71]
	s_and_saveexec_b64 s[70:71], s[2:3]
	s_cbranch_execz .LBB57_14
.LBB57_46:                              ;   in Loop: Header=BB57_9 Depth=2
	s_and_saveexec_b64 s[72:73], s[12:13]
	s_cbranch_execz .LBB57_52
; %bb.47:                               ;   in Loop: Header=BB57_9 Depth=2
	s_and_saveexec_b64 s[74:75], s[16:17]
	s_cbranch_execz .LBB57_51
; %bb.48:                               ;   in Loop: Header=BB57_9 Depth=2
	;; [unrolled: 3-line block ×3, first 2 shown]
	v_ashrrev_i32_e32 v3, 31, v2
	v_lshlrev_b64 v[21:22], 1, v[2:3]
	v_add_u32_e32 v20, s91, v14
	s_waitcnt lgkmcnt(0)
	v_add_co_u32_e64 v23, s[22:23], s52, v21
	v_ashrrev_i32_e32 v21, 31, v20
	v_mov_b32_e32 v3, s53
	v_lshlrev_b64 v[20:21], 1, v[20:21]
	v_addc_co_u32_e64 v24, s[22:23], v3, v22, s[22:23]
	v_mov_b32_e32 v3, s31
	v_add_co_u32_e64 v20, s[22:23], s30, v20
	v_addc_co_u32_e64 v21, s[22:23], v3, v21, s[22:23]
	global_load_ushort v3, v[20:21], off
	s_nop 0
	global_load_ushort v20, v[23:24], off offset:8
	s_waitcnt vmcnt(1)
	v_lshlrev_b32_e32 v3, 16, v3
	s_waitcnt vmcnt(0)
	v_lshlrev_b32_e32 v20, 16, v20
	v_fmac_f32_e32 v15, v20, v3
.LBB57_50:                              ;   in Loop: Header=BB57_9 Depth=2
	s_or_b64 exec, exec, s[76:77]
.LBB57_51:                              ;   in Loop: Header=BB57_9 Depth=2
	s_or_b64 exec, exec, s[74:75]
.LBB57_52:                              ;   in Loop: Header=BB57_9 Depth=2
	s_or_b64 exec, exec, s[72:73]
	s_or_b64 exec, exec, s[70:71]
	s_and_saveexec_b64 s[70:71], s[2:3]
	s_cbranch_execz .LBB57_15
.LBB57_53:                              ;   in Loop: Header=BB57_9 Depth=2
	s_and_saveexec_b64 s[72:73], s[14:15]
	s_cbranch_execz .LBB57_59
; %bb.54:                               ;   in Loop: Header=BB57_9 Depth=2
	s_and_saveexec_b64 s[74:75], s[16:17]
	s_cbranch_execz .LBB57_58
; %bb.55:                               ;   in Loop: Header=BB57_9 Depth=2
	;; [unrolled: 3-line block ×3, first 2 shown]
	v_ashrrev_i32_e32 v3, 31, v2
	v_lshlrev_b64 v[21:22], 1, v[2:3]
	v_add_u32_e32 v20, s91, v11
	s_waitcnt lgkmcnt(0)
	v_add_co_u32_e64 v23, s[22:23], s52, v21
	v_ashrrev_i32_e32 v21, 31, v20
	v_mov_b32_e32 v3, s53
	v_lshlrev_b64 v[20:21], 1, v[20:21]
	v_addc_co_u32_e64 v24, s[22:23], v3, v22, s[22:23]
	v_mov_b32_e32 v3, s31
	v_add_co_u32_e64 v20, s[22:23], s30, v20
	v_addc_co_u32_e64 v21, s[22:23], v3, v21, s[22:23]
	global_load_ushort v3, v[20:21], off
	s_nop 0
	global_load_ushort v20, v[23:24], off offset:10
	s_waitcnt vmcnt(1)
	v_lshlrev_b32_e32 v3, 16, v3
	s_waitcnt vmcnt(0)
	v_lshlrev_b32_e32 v20, 16, v20
	v_fmac_f32_e32 v15, v20, v3
.LBB57_57:                              ;   in Loop: Header=BB57_9 Depth=2
	s_or_b64 exec, exec, s[76:77]
.LBB57_58:                              ;   in Loop: Header=BB57_9 Depth=2
	s_or_b64 exec, exec, s[74:75]
.LBB57_59:                              ;   in Loop: Header=BB57_9 Depth=2
	s_or_b64 exec, exec, s[72:73]
	s_or_b64 exec, exec, s[70:71]
	s_and_saveexec_b64 s[70:71], s[4:5]
	s_cbranch_execz .LBB57_16
.LBB57_60:                              ;   in Loop: Header=BB57_9 Depth=2
	s_and_saveexec_b64 s[72:73], s[18:19]
	s_cbranch_execz .LBB57_66
; %bb.61:                               ;   in Loop: Header=BB57_9 Depth=2
	s_and_saveexec_b64 s[74:75], s[10:11]
	s_cbranch_execz .LBB57_65
; %bb.62:                               ;   in Loop: Header=BB57_9 Depth=2
	;; [unrolled: 3-line block ×3, first 2 shown]
	v_ashrrev_i32_e32 v3, 31, v2
	v_lshlrev_b64 v[21:22], 1, v[2:3]
	v_add_u32_e32 v20, s91, v17
	s_waitcnt lgkmcnt(0)
	v_add_co_u32_e64 v23, s[22:23], s52, v21
	v_ashrrev_i32_e32 v21, 31, v20
	v_mov_b32_e32 v3, s53
	v_lshlrev_b64 v[20:21], 1, v[20:21]
	v_addc_co_u32_e64 v24, s[22:23], v3, v22, s[22:23]
	v_mov_b32_e32 v3, s31
	v_add_co_u32_e64 v20, s[22:23], s30, v20
	v_addc_co_u32_e64 v21, s[22:23], v3, v21, s[22:23]
	global_load_ushort v3, v[20:21], off
	s_nop 0
	global_load_ushort v20, v[23:24], off offset:12
	s_waitcnt vmcnt(1)
	v_lshlrev_b32_e32 v3, 16, v3
	s_waitcnt vmcnt(0)
	v_lshlrev_b32_e32 v20, 16, v20
	v_fmac_f32_e32 v15, v20, v3
.LBB57_64:                              ;   in Loop: Header=BB57_9 Depth=2
	s_or_b64 exec, exec, s[76:77]
.LBB57_65:                              ;   in Loop: Header=BB57_9 Depth=2
	s_or_b64 exec, exec, s[74:75]
.LBB57_66:                              ;   in Loop: Header=BB57_9 Depth=2
	s_or_b64 exec, exec, s[72:73]
	s_or_b64 exec, exec, s[70:71]
	s_and_saveexec_b64 s[70:71], s[4:5]
	s_cbranch_execz .LBB57_17
.LBB57_67:                              ;   in Loop: Header=BB57_9 Depth=2
	s_and_saveexec_b64 s[72:73], s[20:21]
	s_cbranch_execz .LBB57_73
; %bb.68:                               ;   in Loop: Header=BB57_9 Depth=2
	s_and_saveexec_b64 s[74:75], s[10:11]
	s_cbranch_execz .LBB57_72
; %bb.69:                               ;   in Loop: Header=BB57_9 Depth=2
	;; [unrolled: 3-line block ×3, first 2 shown]
	v_ashrrev_i32_e32 v3, 31, v2
	v_lshlrev_b64 v[21:22], 1, v[2:3]
	v_add_u32_e32 v20, s91, v13
	s_waitcnt lgkmcnt(0)
	v_add_co_u32_e64 v23, s[22:23], s52, v21
	v_ashrrev_i32_e32 v21, 31, v20
	v_mov_b32_e32 v3, s53
	v_lshlrev_b64 v[20:21], 1, v[20:21]
	v_addc_co_u32_e64 v24, s[22:23], v3, v22, s[22:23]
	v_mov_b32_e32 v3, s31
	v_add_co_u32_e64 v20, s[22:23], s30, v20
	v_addc_co_u32_e64 v21, s[22:23], v3, v21, s[22:23]
	global_load_ushort v3, v[20:21], off
	s_nop 0
	global_load_ushort v20, v[23:24], off offset:14
	s_waitcnt vmcnt(1)
	v_lshlrev_b32_e32 v3, 16, v3
	s_waitcnt vmcnt(0)
	v_lshlrev_b32_e32 v20, 16, v20
	v_fmac_f32_e32 v15, v20, v3
.LBB57_71:                              ;   in Loop: Header=BB57_9 Depth=2
	s_or_b64 exec, exec, s[76:77]
.LBB57_72:                              ;   in Loop: Header=BB57_9 Depth=2
	s_or_b64 exec, exec, s[74:75]
.LBB57_73:                              ;   in Loop: Header=BB57_9 Depth=2
	s_or_b64 exec, exec, s[72:73]
	s_or_b64 exec, exec, s[70:71]
	s_and_saveexec_b64 s[70:71], s[4:5]
	s_cbranch_execz .LBB57_8
.LBB57_74:                              ;   in Loop: Header=BB57_9 Depth=2
	s_and_saveexec_b64 s[72:73], s[26:27]
	s_cbranch_execz .LBB57_7
; %bb.75:                               ;   in Loop: Header=BB57_9 Depth=2
	s_and_saveexec_b64 s[74:75], s[24:25]
	s_cbranch_execz .LBB57_6
; %bb.76:                               ;   in Loop: Header=BB57_9 Depth=2
	v_ashrrev_i32_e32 v3, 31, v2
	v_lshlrev_b64 v[21:22], 1, v[2:3]
	v_add_u32_e32 v20, s91, v10
	s_waitcnt lgkmcnt(0)
	v_add_co_u32_e64 v23, s[22:23], s52, v21
	v_ashrrev_i32_e32 v21, 31, v20
	v_mov_b32_e32 v3, s53
	v_lshlrev_b64 v[20:21], 1, v[20:21]
	v_addc_co_u32_e64 v24, s[22:23], v3, v22, s[22:23]
	v_mov_b32_e32 v3, s31
	v_add_co_u32_e64 v20, s[22:23], s30, v20
	v_addc_co_u32_e64 v21, s[22:23], v3, v21, s[22:23]
	global_load_ushort v3, v[20:21], off
	s_nop 0
	global_load_ushort v20, v[23:24], off offset:16
	s_waitcnt vmcnt(1)
	v_lshlrev_b32_e32 v3, 16, v3
	s_waitcnt vmcnt(0)
	v_lshlrev_b32_e32 v20, 16, v20
	v_fmac_f32_e32 v15, v20, v3
	s_branch .LBB57_6
.LBB57_77:
	s_endpgm
	.section	.rodata,"a",@progbits
	.p2align	6, 0x0
	.amdhsa_kernel _ZN2at6native12_GLOBAL__N_132conv_depthwise2d_backward_kernelILi3ELi0EN3c108BFloat16EiEEvN5torch10headeronly6detail27GenericPackedTensorAccessorINS7_14TensorAccessorINS3_8ArrayRefIlEEKT1_Lm3ENS6_16DefaultPtrTraitsEiEENS_6detail16IndexBoundsCheckILm4EiEESD_Lm4ESE_iEENS8_INS9_ISB_SC_Lm3ESE_iEESI_SC_Lm4ESE_iEESJ_T2_iiiiiiiiiiiiiii
		.amdhsa_group_segment_fixed_size 0
		.amdhsa_private_segment_fixed_size 0
		.amdhsa_kernarg_size 440
		.amdhsa_user_sgpr_count 6
		.amdhsa_user_sgpr_private_segment_buffer 1
		.amdhsa_user_sgpr_dispatch_ptr 0
		.amdhsa_user_sgpr_queue_ptr 0
		.amdhsa_user_sgpr_kernarg_segment_ptr 1
		.amdhsa_user_sgpr_dispatch_id 0
		.amdhsa_user_sgpr_flat_scratch_init 0
		.amdhsa_user_sgpr_private_segment_size 0
		.amdhsa_uses_dynamic_stack 0
		.amdhsa_system_sgpr_private_segment_wavefront_offset 0
		.amdhsa_system_sgpr_workgroup_id_x 1
		.amdhsa_system_sgpr_workgroup_id_y 0
		.amdhsa_system_sgpr_workgroup_id_z 0
		.amdhsa_system_sgpr_workgroup_info 0
		.amdhsa_system_vgpr_workitem_id 0
		.amdhsa_next_free_vgpr 30
		.amdhsa_next_free_sgpr 93
		.amdhsa_reserve_vcc 1
		.amdhsa_reserve_flat_scratch 0
		.amdhsa_float_round_mode_32 0
		.amdhsa_float_round_mode_16_64 0
		.amdhsa_float_denorm_mode_32 3
		.amdhsa_float_denorm_mode_16_64 3
		.amdhsa_dx10_clamp 1
		.amdhsa_ieee_mode 1
		.amdhsa_fp16_overflow 0
		.amdhsa_exception_fp_ieee_invalid_op 0
		.amdhsa_exception_fp_denorm_src 0
		.amdhsa_exception_fp_ieee_div_zero 0
		.amdhsa_exception_fp_ieee_overflow 0
		.amdhsa_exception_fp_ieee_underflow 0
		.amdhsa_exception_fp_ieee_inexact 0
		.amdhsa_exception_int_div_zero 0
	.end_amdhsa_kernel
	.section	.text._ZN2at6native12_GLOBAL__N_132conv_depthwise2d_backward_kernelILi3ELi0EN3c108BFloat16EiEEvN5torch10headeronly6detail27GenericPackedTensorAccessorINS7_14TensorAccessorINS3_8ArrayRefIlEEKT1_Lm3ENS6_16DefaultPtrTraitsEiEENS_6detail16IndexBoundsCheckILm4EiEESD_Lm4ESE_iEENS8_INS9_ISB_SC_Lm3ESE_iEESI_SC_Lm4ESE_iEESJ_T2_iiiiiiiiiiiiiii,"axG",@progbits,_ZN2at6native12_GLOBAL__N_132conv_depthwise2d_backward_kernelILi3ELi0EN3c108BFloat16EiEEvN5torch10headeronly6detail27GenericPackedTensorAccessorINS7_14TensorAccessorINS3_8ArrayRefIlEEKT1_Lm3ENS6_16DefaultPtrTraitsEiEENS_6detail16IndexBoundsCheckILm4EiEESD_Lm4ESE_iEENS8_INS9_ISB_SC_Lm3ESE_iEESI_SC_Lm4ESE_iEESJ_T2_iiiiiiiiiiiiiii,comdat
.Lfunc_end57:
	.size	_ZN2at6native12_GLOBAL__N_132conv_depthwise2d_backward_kernelILi3ELi0EN3c108BFloat16EiEEvN5torch10headeronly6detail27GenericPackedTensorAccessorINS7_14TensorAccessorINS3_8ArrayRefIlEEKT1_Lm3ENS6_16DefaultPtrTraitsEiEENS_6detail16IndexBoundsCheckILm4EiEESD_Lm4ESE_iEENS8_INS9_ISB_SC_Lm3ESE_iEESI_SC_Lm4ESE_iEESJ_T2_iiiiiiiiiiiiiii, .Lfunc_end57-_ZN2at6native12_GLOBAL__N_132conv_depthwise2d_backward_kernelILi3ELi0EN3c108BFloat16EiEEvN5torch10headeronly6detail27GenericPackedTensorAccessorINS7_14TensorAccessorINS3_8ArrayRefIlEEKT1_Lm3ENS6_16DefaultPtrTraitsEiEENS_6detail16IndexBoundsCheckILm4EiEESD_Lm4ESE_iEENS8_INS9_ISB_SC_Lm3ESE_iEESI_SC_Lm4ESE_iEESJ_T2_iiiiiiiiiiiiiii
                                        ; -- End function
	.set _ZN2at6native12_GLOBAL__N_132conv_depthwise2d_backward_kernelILi3ELi0EN3c108BFloat16EiEEvN5torch10headeronly6detail27GenericPackedTensorAccessorINS7_14TensorAccessorINS3_8ArrayRefIlEEKT1_Lm3ENS6_16DefaultPtrTraitsEiEENS_6detail16IndexBoundsCheckILm4EiEESD_Lm4ESE_iEENS8_INS9_ISB_SC_Lm3ESE_iEESI_SC_Lm4ESE_iEESJ_T2_iiiiiiiiiiiiiii.num_vgpr, 30
	.set _ZN2at6native12_GLOBAL__N_132conv_depthwise2d_backward_kernelILi3ELi0EN3c108BFloat16EiEEvN5torch10headeronly6detail27GenericPackedTensorAccessorINS7_14TensorAccessorINS3_8ArrayRefIlEEKT1_Lm3ENS6_16DefaultPtrTraitsEiEENS_6detail16IndexBoundsCheckILm4EiEESD_Lm4ESE_iEENS8_INS9_ISB_SC_Lm3ESE_iEESI_SC_Lm4ESE_iEESJ_T2_iiiiiiiiiiiiiii.num_agpr, 0
	.set _ZN2at6native12_GLOBAL__N_132conv_depthwise2d_backward_kernelILi3ELi0EN3c108BFloat16EiEEvN5torch10headeronly6detail27GenericPackedTensorAccessorINS7_14TensorAccessorINS3_8ArrayRefIlEEKT1_Lm3ENS6_16DefaultPtrTraitsEiEENS_6detail16IndexBoundsCheckILm4EiEESD_Lm4ESE_iEENS8_INS9_ISB_SC_Lm3ESE_iEESI_SC_Lm4ESE_iEESJ_T2_iiiiiiiiiiiiiii.numbered_sgpr, 93
	.set _ZN2at6native12_GLOBAL__N_132conv_depthwise2d_backward_kernelILi3ELi0EN3c108BFloat16EiEEvN5torch10headeronly6detail27GenericPackedTensorAccessorINS7_14TensorAccessorINS3_8ArrayRefIlEEKT1_Lm3ENS6_16DefaultPtrTraitsEiEENS_6detail16IndexBoundsCheckILm4EiEESD_Lm4ESE_iEENS8_INS9_ISB_SC_Lm3ESE_iEESI_SC_Lm4ESE_iEESJ_T2_iiiiiiiiiiiiiii.num_named_barrier, 0
	.set _ZN2at6native12_GLOBAL__N_132conv_depthwise2d_backward_kernelILi3ELi0EN3c108BFloat16EiEEvN5torch10headeronly6detail27GenericPackedTensorAccessorINS7_14TensorAccessorINS3_8ArrayRefIlEEKT1_Lm3ENS6_16DefaultPtrTraitsEiEENS_6detail16IndexBoundsCheckILm4EiEESD_Lm4ESE_iEENS8_INS9_ISB_SC_Lm3ESE_iEESI_SC_Lm4ESE_iEESJ_T2_iiiiiiiiiiiiiii.private_seg_size, 0
	.set _ZN2at6native12_GLOBAL__N_132conv_depthwise2d_backward_kernelILi3ELi0EN3c108BFloat16EiEEvN5torch10headeronly6detail27GenericPackedTensorAccessorINS7_14TensorAccessorINS3_8ArrayRefIlEEKT1_Lm3ENS6_16DefaultPtrTraitsEiEENS_6detail16IndexBoundsCheckILm4EiEESD_Lm4ESE_iEENS8_INS9_ISB_SC_Lm3ESE_iEESI_SC_Lm4ESE_iEESJ_T2_iiiiiiiiiiiiiii.uses_vcc, 1
	.set _ZN2at6native12_GLOBAL__N_132conv_depthwise2d_backward_kernelILi3ELi0EN3c108BFloat16EiEEvN5torch10headeronly6detail27GenericPackedTensorAccessorINS7_14TensorAccessorINS3_8ArrayRefIlEEKT1_Lm3ENS6_16DefaultPtrTraitsEiEENS_6detail16IndexBoundsCheckILm4EiEESD_Lm4ESE_iEENS8_INS9_ISB_SC_Lm3ESE_iEESI_SC_Lm4ESE_iEESJ_T2_iiiiiiiiiiiiiii.uses_flat_scratch, 0
	.set _ZN2at6native12_GLOBAL__N_132conv_depthwise2d_backward_kernelILi3ELi0EN3c108BFloat16EiEEvN5torch10headeronly6detail27GenericPackedTensorAccessorINS7_14TensorAccessorINS3_8ArrayRefIlEEKT1_Lm3ENS6_16DefaultPtrTraitsEiEENS_6detail16IndexBoundsCheckILm4EiEESD_Lm4ESE_iEENS8_INS9_ISB_SC_Lm3ESE_iEESI_SC_Lm4ESE_iEESJ_T2_iiiiiiiiiiiiiii.has_dyn_sized_stack, 0
	.set _ZN2at6native12_GLOBAL__N_132conv_depthwise2d_backward_kernelILi3ELi0EN3c108BFloat16EiEEvN5torch10headeronly6detail27GenericPackedTensorAccessorINS7_14TensorAccessorINS3_8ArrayRefIlEEKT1_Lm3ENS6_16DefaultPtrTraitsEiEENS_6detail16IndexBoundsCheckILm4EiEESD_Lm4ESE_iEENS8_INS9_ISB_SC_Lm3ESE_iEESI_SC_Lm4ESE_iEESJ_T2_iiiiiiiiiiiiiii.has_recursion, 0
	.set _ZN2at6native12_GLOBAL__N_132conv_depthwise2d_backward_kernelILi3ELi0EN3c108BFloat16EiEEvN5torch10headeronly6detail27GenericPackedTensorAccessorINS7_14TensorAccessorINS3_8ArrayRefIlEEKT1_Lm3ENS6_16DefaultPtrTraitsEiEENS_6detail16IndexBoundsCheckILm4EiEESD_Lm4ESE_iEENS8_INS9_ISB_SC_Lm3ESE_iEESI_SC_Lm4ESE_iEESJ_T2_iiiiiiiiiiiiiii.has_indirect_call, 0
	.section	.AMDGPU.csdata,"",@progbits
; Kernel info:
; codeLenInByte = 3480
; TotalNumSgprs: 97
; NumVgprs: 30
; ScratchSize: 0
; MemoryBound: 0
; FloatMode: 240
; IeeeMode: 1
; LDSByteSize: 0 bytes/workgroup (compile time only)
; SGPRBlocks: 12
; VGPRBlocks: 7
; NumSGPRsForWavesPerEU: 97
; NumVGPRsForWavesPerEU: 30
; Occupancy: 8
; WaveLimiterHint : 0
; COMPUTE_PGM_RSRC2:SCRATCH_EN: 0
; COMPUTE_PGM_RSRC2:USER_SGPR: 6
; COMPUTE_PGM_RSRC2:TRAP_HANDLER: 0
; COMPUTE_PGM_RSRC2:TGID_X_EN: 1
; COMPUTE_PGM_RSRC2:TGID_Y_EN: 0
; COMPUTE_PGM_RSRC2:TGID_Z_EN: 0
; COMPUTE_PGM_RSRC2:TIDIG_COMP_CNT: 0
	.section	.text._ZN2at6native12_GLOBAL__N_132conv_depthwise2d_backward_kernelILi1ELi1EN3c108BFloat16EiEEvN5torch10headeronly6detail27GenericPackedTensorAccessorINS7_14TensorAccessorINS3_8ArrayRefIlEEKT1_Lm3ENS6_16DefaultPtrTraitsEiEENS_6detail16IndexBoundsCheckILm4EiEESD_Lm4ESE_iEENS8_INS9_ISB_SC_Lm3ESE_iEESI_SC_Lm4ESE_iEESJ_T2_iiiiiiiiiiiiiii,"axG",@progbits,_ZN2at6native12_GLOBAL__N_132conv_depthwise2d_backward_kernelILi1ELi1EN3c108BFloat16EiEEvN5torch10headeronly6detail27GenericPackedTensorAccessorINS7_14TensorAccessorINS3_8ArrayRefIlEEKT1_Lm3ENS6_16DefaultPtrTraitsEiEENS_6detail16IndexBoundsCheckILm4EiEESD_Lm4ESE_iEENS8_INS9_ISB_SC_Lm3ESE_iEESI_SC_Lm4ESE_iEESJ_T2_iiiiiiiiiiiiiii,comdat
	.globl	_ZN2at6native12_GLOBAL__N_132conv_depthwise2d_backward_kernelILi1ELi1EN3c108BFloat16EiEEvN5torch10headeronly6detail27GenericPackedTensorAccessorINS7_14TensorAccessorINS3_8ArrayRefIlEEKT1_Lm3ENS6_16DefaultPtrTraitsEiEENS_6detail16IndexBoundsCheckILm4EiEESD_Lm4ESE_iEENS8_INS9_ISB_SC_Lm3ESE_iEESI_SC_Lm4ESE_iEESJ_T2_iiiiiiiiiiiiiii ; -- Begin function _ZN2at6native12_GLOBAL__N_132conv_depthwise2d_backward_kernelILi1ELi1EN3c108BFloat16EiEEvN5torch10headeronly6detail27GenericPackedTensorAccessorINS7_14TensorAccessorINS3_8ArrayRefIlEEKT1_Lm3ENS6_16DefaultPtrTraitsEiEENS_6detail16IndexBoundsCheckILm4EiEESD_Lm4ESE_iEENS8_INS9_ISB_SC_Lm3ESE_iEESI_SC_Lm4ESE_iEESJ_T2_iiiiiiiiiiiiiii
	.p2align	8
	.type	_ZN2at6native12_GLOBAL__N_132conv_depthwise2d_backward_kernelILi1ELi1EN3c108BFloat16EiEEvN5torch10headeronly6detail27GenericPackedTensorAccessorINS7_14TensorAccessorINS3_8ArrayRefIlEEKT1_Lm3ENS6_16DefaultPtrTraitsEiEENS_6detail16IndexBoundsCheckILm4EiEESD_Lm4ESE_iEENS8_INS9_ISB_SC_Lm3ESE_iEESI_SC_Lm4ESE_iEESJ_T2_iiiiiiiiiiiiiii,@function
_ZN2at6native12_GLOBAL__N_132conv_depthwise2d_backward_kernelILi1ELi1EN3c108BFloat16EiEEvN5torch10headeronly6detail27GenericPackedTensorAccessorINS7_14TensorAccessorINS3_8ArrayRefIlEEKT1_Lm3ENS6_16DefaultPtrTraitsEiEENS_6detail16IndexBoundsCheckILm4EiEESD_Lm4ESE_iEENS8_INS9_ISB_SC_Lm3ESE_iEESI_SC_Lm4ESE_iEESJ_T2_iiiiiiiiiiiiiii: ; @_ZN2at6native12_GLOBAL__N_132conv_depthwise2d_backward_kernelILi1ELi1EN3c108BFloat16EiEEvN5torch10headeronly6detail27GenericPackedTensorAccessorINS7_14TensorAccessorINS3_8ArrayRefIlEEKT1_Lm3ENS6_16DefaultPtrTraitsEiEENS_6detail16IndexBoundsCheckILm4EiEESD_Lm4ESE_iEENS8_INS9_ISB_SC_Lm3ESE_iEESI_SC_Lm4ESE_iEESJ_T2_iiiiiiiiiiiiiii
; %bb.0:
	s_load_dword s2, s[4:5], 0xc4
	s_load_dwordx8 s[8:15], s[4:5], 0x78
	s_add_u32 s0, s4, 0xb8
	s_addc_u32 s1, s5, 0
	v_mov_b32_e32 v1, 0
	s_waitcnt lgkmcnt(0)
	s_and_b32 s2, s2, 0xffff
	v_mov_b32_e32 v2, s6
	v_mad_u64_u32 v[1:2], s[16:17], s2, v2, v[0:1]
	s_ashr_i32 s17, s8, 31
	s_mov_b32 s16, s8
	v_cmp_gt_i64_e32 vcc, s[16:17], v[1:2]
	s_and_saveexec_b64 s[18:19], vcc
	s_cbranch_execz .LBB58_9
; %bb.1:
	s_cmp_gt_i32 s10, 0
	s_cselect_b64 s[38:39], -1, 0
	s_abs_i32 s8, s12
	v_cvt_f32_u32_e32 v3, s8
	s_abs_i32 s28, s13
	v_cvt_f32_u32_e32 v4, s28
	s_abs_i32 s29, s9
	v_rcp_iflag_f32_e32 v3, v3
	v_cvt_f32_u32_e32 v5, s29
	v_rcp_iflag_f32_e32 v4, v4
	s_load_dwordx2 s[26:27], s[4:5], 0x98
	s_load_dwordx2 s[20:21], s[4:5], 0x0
	;; [unrolled: 1-line block ×4, first 2 shown]
	s_load_dword s3, s[0:1], 0x0
	v_mul_f32_e32 v3, 0x4f7ffffe, v3
	v_rcp_iflag_f32_e32 v5, v5
	v_cvt_u32_f32_e32 v3, v3
	v_mul_f32_e32 v4, 0x4f7ffffe, v4
	s_sub_i32 s0, 0, s8
	v_cvt_u32_f32_e32 v4, v4
	v_mul_f32_e32 v5, 0x4f7ffffe, v5
	v_mul_lo_u32 v6, s0, v3
	v_cvt_u32_f32_e32 v5, v5
	s_sub_i32 s0, 0, s28
	v_mul_lo_u32 v7, s0, v4
	s_sub_i32 s0, 0, s29
	v_mul_hi_u32 v6, v3, v6
	v_mul_lo_u32 v8, s0, v5
	s_load_dwordx2 s[18:19], s[4:5], 0xa8
	v_mul_hi_u32 v9, v4, v7
	v_add_u32_e32 v7, v3, v6
	v_mul_hi_u32 v3, v5, v8
	s_mul_i32 s0, s6, s2
	v_add_u32_e32 v8, v4, v9
	s_waitcnt lgkmcnt(0)
	s_mul_i32 s35, s27, s26
	v_add_u32_e32 v9, v5, v3
	s_add_i32 s0, s0, s18
	v_cndmask_b32_e64 v3, 0, 1, s[38:39]
	s_mul_i32 s30, s3, s2
	s_ashr_i32 s31, s12, 31
	s_ashr_i32 s33, s13, 31
	;; [unrolled: 1-line block ×3, first 2 shown]
	s_mul_i32 s36, s35, s10
	v_add_u32_e32 v0, s0, v0
	s_mul_i32 s37, s15, s14
	s_mov_b64 s[26:27], 0
	v_cmp_ne_u32_e64 s[0:1], 1, v3
	s_movk_i32 s38, 0x7fff
	v_mov_b32_e32 v10, 0x7fc0
	s_branch .LBB58_4
.LBB58_2:                               ;   in Loop: Header=BB58_4 Depth=1
	v_mov_b32_e32 v11, 0
.LBB58_3:                               ;   in Loop: Header=BB58_4 Depth=1
	v_bfe_u32 v3, v11, 16, 1
	v_add3_u32 v3, v11, v3, s38
	v_cmp_o_f32_e32 vcc, v11, v11
	v_cndmask_b32_sdwa v5, v10, v3, vcc dst_sel:DWORD dst_unused:UNUSED_PAD src0_sel:DWORD src1_sel:WORD_1
	v_lshlrev_b64 v[3:4], 1, v[1:2]
	v_mov_b32_e32 v6, s23
	v_add_co_u32_e32 v3, vcc, s22, v3
	v_addc_co_u32_e32 v4, vcc, v6, v4, vcc
	v_add_co_u32_e32 v1, vcc, s30, v1
	v_addc_co_u32_e32 v2, vcc, 0, v2, vcc
	v_cmp_le_i64_e32 vcc, s[16:17], v[1:2]
	v_add_u32_e32 v0, s30, v0
	s_or_b64 s[26:27], vcc, s[26:27]
	global_store_short v[3:4], v5, off
	s_andn2_b64 exec, exec, s[26:27]
	s_cbranch_execz .LBB58_9
.LBB58_4:                               ; =>This Loop Header: Depth=1
                                        ;     Child Loop BB58_7 Depth 2
	s_and_b64 vcc, exec, s[0:1]
	s_cbranch_vccnz .LBB58_2
; %bb.5:                                ;   in Loop: Header=BB58_4 Depth=1
	v_sub_u32_e32 v3, 0, v1
	v_max_i32_e32 v3, v1, v3
	v_mul_hi_u32 v4, v3, v7
	v_ashrrev_i32_e32 v6, 31, v1
	v_xor_b32_e32 v6, s31, v6
	v_mul_lo_u32 v5, v4, s8
	v_add_u32_e32 v11, 1, v4
	v_sub_u32_e32 v3, v3, v5
	v_cmp_le_u32_e32 vcc, s8, v3
	v_subrev_u32_e32 v5, s8, v3
	v_cndmask_b32_e32 v4, v4, v11, vcc
	v_cndmask_b32_e32 v3, v3, v5, vcc
	v_add_u32_e32 v5, 1, v4
	v_cmp_le_u32_e32 vcc, s8, v3
	v_cndmask_b32_e32 v3, v4, v5, vcc
	v_xor_b32_e32 v5, v3, v6
	v_sub_u32_e32 v3, v5, v6
	v_sub_u32_e32 v4, 0, v3
	v_max_i32_e32 v4, v3, v4
	v_mul_hi_u32 v11, v4, v8
	v_ashrrev_i32_e32 v13, 31, v3
	v_xor_b32_e32 v13, s33, v13
	v_mul_lo_u32 v12, v11, s28
	v_add_u32_e32 v14, 1, v11
	v_sub_u32_e32 v4, v4, v12
	v_cmp_le_u32_e32 vcc, s28, v4
	v_subrev_u32_e32 v12, s28, v4
	v_cndmask_b32_e32 v11, v11, v14, vcc
	v_cndmask_b32_e32 v4, v4, v12, vcc
	v_add_u32_e32 v12, 1, v11
	v_cmp_le_u32_e32 vcc, s28, v4
	v_cndmask_b32_e32 v4, v11, v12, vcc
	v_xor_b32_e32 v4, v4, v13
	v_sub_u32_e32 v4, v4, v13
	;; [unrolled: 17-line block ×3, first 2 shown]
	v_mul_lo_u32 v12, v11, s9
	v_mul_lo_u32 v13, v4, s13
	;; [unrolled: 1-line block ×3, first 2 shown]
	v_sub_u32_e32 v12, v4, v12
	v_sub_u32_e32 v4, v3, v13
	v_mul_lo_u32 v3, v11, s11
	v_add_u32_e32 v15, s19, v4
	v_sub_u32_e32 v11, v1, v14
	v_cmp_gt_i32_e32 vcc, 0, v15
	v_mad_u64_u32 v[3:4], s[2:3], v12, s10, v[3:4]
	v_add_u32_e32 v4, s18, v11
	v_cmp_gt_i32_e64 s[4:5], 0, v4
	v_mul_lo_u32 v3, s15, v3
	v_cmp_le_i32_e64 s[6:7], s14, v4
	s_or_b64 s[4:5], s[4:5], s[6:7]
	v_cmp_le_i32_e64 s[2:3], s15, v15
	v_add3_u32 v3, s19, v5, v3
	v_sub_u32_e32 v3, v3, v13
	v_sub_u32_e32 v3, v3, v6
	v_mad_u64_u32 v[4:5], s[6:7], s14, v3, v[0:1]
	v_mul_lo_u32 v3, s36, v12
	s_or_b64 s[2:3], vcc, s[2:3]
	s_nor_b64 s[2:3], s[2:3], s[4:5]
	v_sub_u32_e32 v5, v4, v14
	v_mov_b32_e32 v11, 0
	s_mov_b32 s6, s10
	s_branch .LBB58_7
.LBB58_6:                               ;   in Loop: Header=BB58_7 Depth=2
	s_or_b64 exec, exec, s[4:5]
	s_add_i32 s6, s6, -1
	v_add_u32_e32 v3, s35, v3
	s_cmp_eq_u32 s6, 0
	v_add_u32_e32 v5, s37, v5
	s_cbranch_scc1 .LBB58_3
.LBB58_7:                               ;   Parent Loop BB58_4 Depth=1
                                        ; =>  This Inner Loop Header: Depth=2
	s_and_saveexec_b64 s[4:5], s[2:3]
	s_cbranch_execz .LBB58_6
; %bb.8:                                ;   in Loop: Header=BB58_7 Depth=2
	v_ashrrev_i32_e32 v6, 31, v5
	v_lshlrev_b64 v[12:13], 1, v[5:6]
	v_mov_b32_e32 v4, s21
	v_add_co_u32_e32 v12, vcc, s20, v12
	v_addc_co_u32_e32 v13, vcc, v4, v13, vcc
	v_ashrrev_i32_e32 v4, 31, v3
	v_lshlrev_b64 v[14:15], 1, v[3:4]
	v_mov_b32_e32 v4, s25
	v_add_co_u32_e32 v14, vcc, s24, v14
	v_addc_co_u32_e32 v15, vcc, v4, v15, vcc
	global_load_ushort v4, v[12:13], off
	global_load_ushort v6, v[14:15], off
	s_waitcnt vmcnt(1)
	v_lshlrev_b32_e32 v4, 16, v4
	s_waitcnt vmcnt(0)
	v_lshlrev_b32_e32 v6, 16, v6
	v_fmac_f32_e32 v11, v6, v4
	s_branch .LBB58_6
.LBB58_9:
	s_endpgm
	.section	.rodata,"a",@progbits
	.p2align	6, 0x0
	.amdhsa_kernel _ZN2at6native12_GLOBAL__N_132conv_depthwise2d_backward_kernelILi1ELi1EN3c108BFloat16EiEEvN5torch10headeronly6detail27GenericPackedTensorAccessorINS7_14TensorAccessorINS3_8ArrayRefIlEEKT1_Lm3ENS6_16DefaultPtrTraitsEiEENS_6detail16IndexBoundsCheckILm4EiEESD_Lm4ESE_iEENS8_INS9_ISB_SC_Lm3ESE_iEESI_SC_Lm4ESE_iEESJ_T2_iiiiiiiiiiiiiii
		.amdhsa_group_segment_fixed_size 0
		.amdhsa_private_segment_fixed_size 0
		.amdhsa_kernarg_size 440
		.amdhsa_user_sgpr_count 6
		.amdhsa_user_sgpr_private_segment_buffer 1
		.amdhsa_user_sgpr_dispatch_ptr 0
		.amdhsa_user_sgpr_queue_ptr 0
		.amdhsa_user_sgpr_kernarg_segment_ptr 1
		.amdhsa_user_sgpr_dispatch_id 0
		.amdhsa_user_sgpr_flat_scratch_init 0
		.amdhsa_user_sgpr_private_segment_size 0
		.amdhsa_uses_dynamic_stack 0
		.amdhsa_system_sgpr_private_segment_wavefront_offset 0
		.amdhsa_system_sgpr_workgroup_id_x 1
		.amdhsa_system_sgpr_workgroup_id_y 0
		.amdhsa_system_sgpr_workgroup_id_z 0
		.amdhsa_system_sgpr_workgroup_info 0
		.amdhsa_system_vgpr_workitem_id 0
		.amdhsa_next_free_vgpr 16
		.amdhsa_next_free_sgpr 40
		.amdhsa_reserve_vcc 1
		.amdhsa_reserve_flat_scratch 0
		.amdhsa_float_round_mode_32 0
		.amdhsa_float_round_mode_16_64 0
		.amdhsa_float_denorm_mode_32 3
		.amdhsa_float_denorm_mode_16_64 3
		.amdhsa_dx10_clamp 1
		.amdhsa_ieee_mode 1
		.amdhsa_fp16_overflow 0
		.amdhsa_exception_fp_ieee_invalid_op 0
		.amdhsa_exception_fp_denorm_src 0
		.amdhsa_exception_fp_ieee_div_zero 0
		.amdhsa_exception_fp_ieee_overflow 0
		.amdhsa_exception_fp_ieee_underflow 0
		.amdhsa_exception_fp_ieee_inexact 0
		.amdhsa_exception_int_div_zero 0
	.end_amdhsa_kernel
	.section	.text._ZN2at6native12_GLOBAL__N_132conv_depthwise2d_backward_kernelILi1ELi1EN3c108BFloat16EiEEvN5torch10headeronly6detail27GenericPackedTensorAccessorINS7_14TensorAccessorINS3_8ArrayRefIlEEKT1_Lm3ENS6_16DefaultPtrTraitsEiEENS_6detail16IndexBoundsCheckILm4EiEESD_Lm4ESE_iEENS8_INS9_ISB_SC_Lm3ESE_iEESI_SC_Lm4ESE_iEESJ_T2_iiiiiiiiiiiiiii,"axG",@progbits,_ZN2at6native12_GLOBAL__N_132conv_depthwise2d_backward_kernelILi1ELi1EN3c108BFloat16EiEEvN5torch10headeronly6detail27GenericPackedTensorAccessorINS7_14TensorAccessorINS3_8ArrayRefIlEEKT1_Lm3ENS6_16DefaultPtrTraitsEiEENS_6detail16IndexBoundsCheckILm4EiEESD_Lm4ESE_iEENS8_INS9_ISB_SC_Lm3ESE_iEESI_SC_Lm4ESE_iEESJ_T2_iiiiiiiiiiiiiii,comdat
.Lfunc_end58:
	.size	_ZN2at6native12_GLOBAL__N_132conv_depthwise2d_backward_kernelILi1ELi1EN3c108BFloat16EiEEvN5torch10headeronly6detail27GenericPackedTensorAccessorINS7_14TensorAccessorINS3_8ArrayRefIlEEKT1_Lm3ENS6_16DefaultPtrTraitsEiEENS_6detail16IndexBoundsCheckILm4EiEESD_Lm4ESE_iEENS8_INS9_ISB_SC_Lm3ESE_iEESI_SC_Lm4ESE_iEESJ_T2_iiiiiiiiiiiiiii, .Lfunc_end58-_ZN2at6native12_GLOBAL__N_132conv_depthwise2d_backward_kernelILi1ELi1EN3c108BFloat16EiEEvN5torch10headeronly6detail27GenericPackedTensorAccessorINS7_14TensorAccessorINS3_8ArrayRefIlEEKT1_Lm3ENS6_16DefaultPtrTraitsEiEENS_6detail16IndexBoundsCheckILm4EiEESD_Lm4ESE_iEENS8_INS9_ISB_SC_Lm3ESE_iEESI_SC_Lm4ESE_iEESJ_T2_iiiiiiiiiiiiiii
                                        ; -- End function
	.set _ZN2at6native12_GLOBAL__N_132conv_depthwise2d_backward_kernelILi1ELi1EN3c108BFloat16EiEEvN5torch10headeronly6detail27GenericPackedTensorAccessorINS7_14TensorAccessorINS3_8ArrayRefIlEEKT1_Lm3ENS6_16DefaultPtrTraitsEiEENS_6detail16IndexBoundsCheckILm4EiEESD_Lm4ESE_iEENS8_INS9_ISB_SC_Lm3ESE_iEESI_SC_Lm4ESE_iEESJ_T2_iiiiiiiiiiiiiii.num_vgpr, 16
	.set _ZN2at6native12_GLOBAL__N_132conv_depthwise2d_backward_kernelILi1ELi1EN3c108BFloat16EiEEvN5torch10headeronly6detail27GenericPackedTensorAccessorINS7_14TensorAccessorINS3_8ArrayRefIlEEKT1_Lm3ENS6_16DefaultPtrTraitsEiEENS_6detail16IndexBoundsCheckILm4EiEESD_Lm4ESE_iEENS8_INS9_ISB_SC_Lm3ESE_iEESI_SC_Lm4ESE_iEESJ_T2_iiiiiiiiiiiiiii.num_agpr, 0
	.set _ZN2at6native12_GLOBAL__N_132conv_depthwise2d_backward_kernelILi1ELi1EN3c108BFloat16EiEEvN5torch10headeronly6detail27GenericPackedTensorAccessorINS7_14TensorAccessorINS3_8ArrayRefIlEEKT1_Lm3ENS6_16DefaultPtrTraitsEiEENS_6detail16IndexBoundsCheckILm4EiEESD_Lm4ESE_iEENS8_INS9_ISB_SC_Lm3ESE_iEESI_SC_Lm4ESE_iEESJ_T2_iiiiiiiiiiiiiii.numbered_sgpr, 40
	.set _ZN2at6native12_GLOBAL__N_132conv_depthwise2d_backward_kernelILi1ELi1EN3c108BFloat16EiEEvN5torch10headeronly6detail27GenericPackedTensorAccessorINS7_14TensorAccessorINS3_8ArrayRefIlEEKT1_Lm3ENS6_16DefaultPtrTraitsEiEENS_6detail16IndexBoundsCheckILm4EiEESD_Lm4ESE_iEENS8_INS9_ISB_SC_Lm3ESE_iEESI_SC_Lm4ESE_iEESJ_T2_iiiiiiiiiiiiiii.num_named_barrier, 0
	.set _ZN2at6native12_GLOBAL__N_132conv_depthwise2d_backward_kernelILi1ELi1EN3c108BFloat16EiEEvN5torch10headeronly6detail27GenericPackedTensorAccessorINS7_14TensorAccessorINS3_8ArrayRefIlEEKT1_Lm3ENS6_16DefaultPtrTraitsEiEENS_6detail16IndexBoundsCheckILm4EiEESD_Lm4ESE_iEENS8_INS9_ISB_SC_Lm3ESE_iEESI_SC_Lm4ESE_iEESJ_T2_iiiiiiiiiiiiiii.private_seg_size, 0
	.set _ZN2at6native12_GLOBAL__N_132conv_depthwise2d_backward_kernelILi1ELi1EN3c108BFloat16EiEEvN5torch10headeronly6detail27GenericPackedTensorAccessorINS7_14TensorAccessorINS3_8ArrayRefIlEEKT1_Lm3ENS6_16DefaultPtrTraitsEiEENS_6detail16IndexBoundsCheckILm4EiEESD_Lm4ESE_iEENS8_INS9_ISB_SC_Lm3ESE_iEESI_SC_Lm4ESE_iEESJ_T2_iiiiiiiiiiiiiii.uses_vcc, 1
	.set _ZN2at6native12_GLOBAL__N_132conv_depthwise2d_backward_kernelILi1ELi1EN3c108BFloat16EiEEvN5torch10headeronly6detail27GenericPackedTensorAccessorINS7_14TensorAccessorINS3_8ArrayRefIlEEKT1_Lm3ENS6_16DefaultPtrTraitsEiEENS_6detail16IndexBoundsCheckILm4EiEESD_Lm4ESE_iEENS8_INS9_ISB_SC_Lm3ESE_iEESI_SC_Lm4ESE_iEESJ_T2_iiiiiiiiiiiiiii.uses_flat_scratch, 0
	.set _ZN2at6native12_GLOBAL__N_132conv_depthwise2d_backward_kernelILi1ELi1EN3c108BFloat16EiEEvN5torch10headeronly6detail27GenericPackedTensorAccessorINS7_14TensorAccessorINS3_8ArrayRefIlEEKT1_Lm3ENS6_16DefaultPtrTraitsEiEENS_6detail16IndexBoundsCheckILm4EiEESD_Lm4ESE_iEENS8_INS9_ISB_SC_Lm3ESE_iEESI_SC_Lm4ESE_iEESJ_T2_iiiiiiiiiiiiiii.has_dyn_sized_stack, 0
	.set _ZN2at6native12_GLOBAL__N_132conv_depthwise2d_backward_kernelILi1ELi1EN3c108BFloat16EiEEvN5torch10headeronly6detail27GenericPackedTensorAccessorINS7_14TensorAccessorINS3_8ArrayRefIlEEKT1_Lm3ENS6_16DefaultPtrTraitsEiEENS_6detail16IndexBoundsCheckILm4EiEESD_Lm4ESE_iEENS8_INS9_ISB_SC_Lm3ESE_iEESI_SC_Lm4ESE_iEESJ_T2_iiiiiiiiiiiiiii.has_recursion, 0
	.set _ZN2at6native12_GLOBAL__N_132conv_depthwise2d_backward_kernelILi1ELi1EN3c108BFloat16EiEEvN5torch10headeronly6detail27GenericPackedTensorAccessorINS7_14TensorAccessorINS3_8ArrayRefIlEEKT1_Lm3ENS6_16DefaultPtrTraitsEiEENS_6detail16IndexBoundsCheckILm4EiEESD_Lm4ESE_iEENS8_INS9_ISB_SC_Lm3ESE_iEESI_SC_Lm4ESE_iEESJ_T2_iiiiiiiiiiiiiii.has_indirect_call, 0
	.section	.AMDGPU.csdata,"",@progbits
; Kernel info:
; codeLenInByte = 960
; TotalNumSgprs: 44
; NumVgprs: 16
; ScratchSize: 0
; MemoryBound: 0
; FloatMode: 240
; IeeeMode: 1
; LDSByteSize: 0 bytes/workgroup (compile time only)
; SGPRBlocks: 5
; VGPRBlocks: 3
; NumSGPRsForWavesPerEU: 44
; NumVGPRsForWavesPerEU: 16
; Occupancy: 10
; WaveLimiterHint : 0
; COMPUTE_PGM_RSRC2:SCRATCH_EN: 0
; COMPUTE_PGM_RSRC2:USER_SGPR: 6
; COMPUTE_PGM_RSRC2:TRAP_HANDLER: 0
; COMPUTE_PGM_RSRC2:TGID_X_EN: 1
; COMPUTE_PGM_RSRC2:TGID_Y_EN: 0
; COMPUTE_PGM_RSRC2:TGID_Z_EN: 0
; COMPUTE_PGM_RSRC2:TIDIG_COMP_CNT: 0
	.section	.text._ZN2at6native12_GLOBAL__N_132conv_depthwise2d_backward_kernelILi1ELi2EN3c108BFloat16EiEEvN5torch10headeronly6detail27GenericPackedTensorAccessorINS7_14TensorAccessorINS3_8ArrayRefIlEEKT1_Lm3ENS6_16DefaultPtrTraitsEiEENS_6detail16IndexBoundsCheckILm4EiEESD_Lm4ESE_iEENS8_INS9_ISB_SC_Lm3ESE_iEESI_SC_Lm4ESE_iEESJ_T2_iiiiiiiiiiiiiii,"axG",@progbits,_ZN2at6native12_GLOBAL__N_132conv_depthwise2d_backward_kernelILi1ELi2EN3c108BFloat16EiEEvN5torch10headeronly6detail27GenericPackedTensorAccessorINS7_14TensorAccessorINS3_8ArrayRefIlEEKT1_Lm3ENS6_16DefaultPtrTraitsEiEENS_6detail16IndexBoundsCheckILm4EiEESD_Lm4ESE_iEENS8_INS9_ISB_SC_Lm3ESE_iEESI_SC_Lm4ESE_iEESJ_T2_iiiiiiiiiiiiiii,comdat
	.globl	_ZN2at6native12_GLOBAL__N_132conv_depthwise2d_backward_kernelILi1ELi2EN3c108BFloat16EiEEvN5torch10headeronly6detail27GenericPackedTensorAccessorINS7_14TensorAccessorINS3_8ArrayRefIlEEKT1_Lm3ENS6_16DefaultPtrTraitsEiEENS_6detail16IndexBoundsCheckILm4EiEESD_Lm4ESE_iEENS8_INS9_ISB_SC_Lm3ESE_iEESI_SC_Lm4ESE_iEESJ_T2_iiiiiiiiiiiiiii ; -- Begin function _ZN2at6native12_GLOBAL__N_132conv_depthwise2d_backward_kernelILi1ELi2EN3c108BFloat16EiEEvN5torch10headeronly6detail27GenericPackedTensorAccessorINS7_14TensorAccessorINS3_8ArrayRefIlEEKT1_Lm3ENS6_16DefaultPtrTraitsEiEENS_6detail16IndexBoundsCheckILm4EiEESD_Lm4ESE_iEENS8_INS9_ISB_SC_Lm3ESE_iEESI_SC_Lm4ESE_iEESJ_T2_iiiiiiiiiiiiiii
	.p2align	8
	.type	_ZN2at6native12_GLOBAL__N_132conv_depthwise2d_backward_kernelILi1ELi2EN3c108BFloat16EiEEvN5torch10headeronly6detail27GenericPackedTensorAccessorINS7_14TensorAccessorINS3_8ArrayRefIlEEKT1_Lm3ENS6_16DefaultPtrTraitsEiEENS_6detail16IndexBoundsCheckILm4EiEESD_Lm4ESE_iEENS8_INS9_ISB_SC_Lm3ESE_iEESI_SC_Lm4ESE_iEESJ_T2_iiiiiiiiiiiiiii,@function
_ZN2at6native12_GLOBAL__N_132conv_depthwise2d_backward_kernelILi1ELi2EN3c108BFloat16EiEEvN5torch10headeronly6detail27GenericPackedTensorAccessorINS7_14TensorAccessorINS3_8ArrayRefIlEEKT1_Lm3ENS6_16DefaultPtrTraitsEiEENS_6detail16IndexBoundsCheckILm4EiEESD_Lm4ESE_iEENS8_INS9_ISB_SC_Lm3ESE_iEESI_SC_Lm4ESE_iEESJ_T2_iiiiiiiiiiiiiii: ; @_ZN2at6native12_GLOBAL__N_132conv_depthwise2d_backward_kernelILi1ELi2EN3c108BFloat16EiEEvN5torch10headeronly6detail27GenericPackedTensorAccessorINS7_14TensorAccessorINS3_8ArrayRefIlEEKT1_Lm3ENS6_16DefaultPtrTraitsEiEENS_6detail16IndexBoundsCheckILm4EiEESD_Lm4ESE_iEENS8_INS9_ISB_SC_Lm3ESE_iEESI_SC_Lm4ESE_iEESJ_T2_iiiiiiiiiiiiiii
; %bb.0:
	s_load_dword s2, s[4:5], 0xc4
	s_load_dwordx8 s[12:19], s[4:5], 0x78
	s_add_u32 s0, s4, 0xb8
	s_addc_u32 s1, s5, 0
	v_mov_b32_e32 v1, 0
	s_waitcnt lgkmcnt(0)
	s_and_b32 s2, s2, 0xffff
	v_mov_b32_e32 v2, s6
	v_mad_u64_u32 v[0:1], s[6:7], s2, v2, v[0:1]
	s_ashr_i32 s11, s12, 31
	s_mov_b32 s10, s12
	v_cmp_gt_i64_e32 vcc, s[10:11], v[0:1]
	s_and_saveexec_b64 s[6:7], vcc
	s_cbranch_execz .LBB59_9
; %bb.1:
	s_cmp_gt_i32 s14, 0
	s_cselect_b64 s[6:7], -1, 0
	s_abs_i32 s12, s16
	v_cvt_f32_u32_e32 v2, s12
	s_abs_i32 s30, s17
	v_cvt_f32_u32_e32 v3, s30
	s_abs_i32 s31, s13
	v_rcp_iflag_f32_e32 v2, v2
	v_cvt_f32_u32_e32 v4, s31
	v_rcp_iflag_f32_e32 v3, v3
	s_load_dwordx2 s[8:9], s[4:5], 0x98
	s_load_dwordx2 s[22:23], s[4:5], 0x0
	;; [unrolled: 1-line block ×4, first 2 shown]
	s_load_dword s3, s[0:1], 0x0
	v_mul_f32_e32 v2, 0x4f7ffffe, v2
	v_rcp_iflag_f32_e32 v4, v4
	v_cvt_u32_f32_e32 v2, v2
	v_mul_f32_e32 v3, 0x4f7ffffe, v3
	s_sub_i32 s0, 0, s12
	v_cvt_u32_f32_e32 v3, v3
	v_mul_f32_e32 v4, 0x4f7ffffe, v4
	v_mul_lo_u32 v5, s0, v2
	v_cvt_u32_f32_e32 v4, v4
	s_sub_i32 s0, 0, s30
	v_mul_lo_u32 v6, s0, v3
	s_sub_i32 s0, 0, s31
	v_mul_hi_u32 v5, v2, v5
	v_mul_lo_u32 v7, s0, v4
	v_mul_hi_u32 v8, v3, v6
	s_load_dwordx2 s[20:21], s[4:5], 0xa8
	v_add_u32_e32 v6, v2, v5
	v_mul_hi_u32 v2, v4, v7
	v_add_u32_e32 v7, v3, v8
	s_waitcnt lgkmcnt(0)
	s_mul_i32 s37, s9, s8
	s_mul_i32 s33, s3, s2
	v_add_u32_e32 v8, v4, v2
	v_cndmask_b32_e64 v2, 0, 1, s[6:7]
	s_ashr_i32 s34, s16, 31
	s_ashr_i32 s35, s17, 31
	;; [unrolled: 1-line block ×3, first 2 shown]
	s_mul_i32 s38, s37, s14
	s_mul_i32 s39, s19, s18
	s_mov_b64 s[28:29], 0
	v_cmp_ne_u32_e64 s[0:1], 1, v2
	s_movk_i32 s40, 0x7fff
	v_mov_b32_e32 v9, 0x7fc0
	s_branch .LBB59_4
.LBB59_2:                               ;   in Loop: Header=BB59_4 Depth=1
	v_mov_b32_e32 v10, 0
.LBB59_3:                               ;   in Loop: Header=BB59_4 Depth=1
	v_bfe_u32 v2, v10, 16, 1
	v_add3_u32 v2, v10, v2, s40
	v_cmp_o_f32_e32 vcc, v10, v10
	v_cndmask_b32_sdwa v4, v9, v2, vcc dst_sel:DWORD dst_unused:UNUSED_PAD src0_sel:DWORD src1_sel:WORD_1
	v_lshlrev_b64 v[2:3], 1, v[0:1]
	v_add_co_u32_e32 v0, vcc, s33, v0
	v_addc_co_u32_e32 v1, vcc, 0, v1, vcc
	v_cmp_le_i64_e32 vcc, s[10:11], v[0:1]
	v_mov_b32_e32 v5, s25
	v_add_co_u32_e64 v2, s[2:3], s24, v2
	v_addc_co_u32_e64 v3, s[2:3], v5, v3, s[2:3]
	s_or_b64 s[28:29], vcc, s[28:29]
	global_store_short v[2:3], v4, off
	s_andn2_b64 exec, exec, s[28:29]
	s_cbranch_execz .LBB59_9
.LBB59_4:                               ; =>This Loop Header: Depth=1
                                        ;     Child Loop BB59_7 Depth 2
	s_and_b64 vcc, exec, s[0:1]
	s_cbranch_vccnz .LBB59_2
; %bb.5:                                ;   in Loop: Header=BB59_4 Depth=1
	v_sub_u32_e32 v2, 0, v0
	v_max_i32_e32 v2, v0, v2
	v_mul_hi_u32 v3, v2, v6
	v_ashrrev_i32_e32 v5, 31, v0
	v_xor_b32_e32 v5, s34, v5
	v_mul_lo_u32 v4, v3, s12
	v_add_u32_e32 v10, 1, v3
	v_sub_u32_e32 v2, v2, v4
	v_cmp_le_u32_e32 vcc, s12, v2
	v_subrev_u32_e32 v4, s12, v2
	v_cndmask_b32_e32 v3, v3, v10, vcc
	v_cndmask_b32_e32 v2, v2, v4, vcc
	v_add_u32_e32 v4, 1, v3
	v_cmp_le_u32_e32 vcc, s12, v2
	v_cndmask_b32_e32 v2, v3, v4, vcc
	v_xor_b32_e32 v2, v2, v5
	v_sub_u32_e32 v2, v2, v5
	v_sub_u32_e32 v3, 0, v2
	v_max_i32_e32 v3, v2, v3
	v_mul_hi_u32 v4, v3, v7
	v_ashrrev_i32_e32 v10, 31, v2
	v_xor_b32_e32 v10, s35, v10
	v_mul_lo_u32 v5, v4, s30
	v_add_u32_e32 v11, 1, v4
	v_sub_u32_e32 v3, v3, v5
	v_cmp_le_u32_e32 vcc, s30, v3
	v_subrev_u32_e32 v5, s30, v3
	v_cndmask_b32_e32 v4, v4, v11, vcc
	v_cndmask_b32_e32 v3, v3, v5, vcc
	v_add_u32_e32 v5, 1, v4
	v_cmp_le_u32_e32 vcc, s30, v3
	v_cndmask_b32_e32 v3, v4, v5, vcc
	v_xor_b32_e32 v3, v3, v10
	v_sub_u32_e32 v3, v3, v10
	;; [unrolled: 17-line block ×3, first 2 shown]
	v_mul_lo_u32 v5, v4, s13
	v_mul_lo_u32 v10, v3, s17
	;; [unrolled: 1-line block ×4, first 2 shown]
	v_sub_u32_e32 v12, v3, v5
	v_sub_u32_e32 v2, v2, v10
	;; [unrolled: 1-line block ×3, first 2 shown]
	v_add_u32_e32 v2, s21, v2
	v_add_u32_e32 v3, s20, v3
	v_or_b32_e32 v5, v2, v3
	v_and_b32_e32 v5, 1, v5
	v_cmp_eq_u32_e32 vcc, 1, v5
	v_mad_u64_u32 v[4:5], s[42:43], v12, s14, v[4:5]
	v_ashrrev_i32_e32 v2, 1, v2
	v_ashrrev_i32_e32 v3, 1, v3
	v_cmp_gt_i32_e64 s[2:3], 0, v2
	v_cmp_le_i32_e64 s[4:5], s19, v2
	s_or_b64 s[2:3], s[2:3], s[4:5]
	v_mad_u64_u32 v[4:5], s[4:5], s19, v4, v[2:3]
	v_mul_lo_u32 v2, s38, v12
	v_cmp_gt_i32_e64 s[6:7], 0, v3
	v_mad_u64_u32 v[4:5], s[4:5], s18, v4, v[3:4]
	v_cmp_le_i32_e64 s[8:9], s18, v3
	s_or_b64 s[6:7], s[6:7], s[8:9]
	s_or_b64 s[2:3], vcc, s[2:3]
	s_nor_b64 s[2:3], s[2:3], s[6:7]
	v_mov_b32_e32 v10, 0
	s_mov_b32 s6, s14
	s_branch .LBB59_7
.LBB59_6:                               ;   in Loop: Header=BB59_7 Depth=2
	s_or_b64 exec, exec, s[4:5]
	s_add_i32 s6, s6, -1
	v_add_u32_e32 v2, s37, v2
	s_cmp_eq_u32 s6, 0
	v_add_u32_e32 v4, s39, v4
	s_cbranch_scc1 .LBB59_3
.LBB59_7:                               ;   Parent Loop BB59_4 Depth=1
                                        ; =>  This Inner Loop Header: Depth=2
	s_and_saveexec_b64 s[4:5], s[2:3]
	s_cbranch_execz .LBB59_6
; %bb.8:                                ;   in Loop: Header=BB59_7 Depth=2
	v_ashrrev_i32_e32 v5, 31, v4
	v_lshlrev_b64 v[11:12], 1, v[4:5]
	v_mov_b32_e32 v3, s23
	v_add_co_u32_e32 v11, vcc, s22, v11
	v_addc_co_u32_e32 v12, vcc, v3, v12, vcc
	v_ashrrev_i32_e32 v3, 31, v2
	v_lshlrev_b64 v[13:14], 1, v[2:3]
	v_mov_b32_e32 v3, s27
	v_add_co_u32_e32 v13, vcc, s26, v13
	v_addc_co_u32_e32 v14, vcc, v3, v14, vcc
	global_load_ushort v3, v[11:12], off
	global_load_ushort v5, v[13:14], off
	s_waitcnt vmcnt(1)
	v_lshlrev_b32_e32 v3, 16, v3
	s_waitcnt vmcnt(0)
	v_lshlrev_b32_e32 v5, 16, v5
	v_fmac_f32_e32 v10, v5, v3
	s_branch .LBB59_6
.LBB59_9:
	s_endpgm
	.section	.rodata,"a",@progbits
	.p2align	6, 0x0
	.amdhsa_kernel _ZN2at6native12_GLOBAL__N_132conv_depthwise2d_backward_kernelILi1ELi2EN3c108BFloat16EiEEvN5torch10headeronly6detail27GenericPackedTensorAccessorINS7_14TensorAccessorINS3_8ArrayRefIlEEKT1_Lm3ENS6_16DefaultPtrTraitsEiEENS_6detail16IndexBoundsCheckILm4EiEESD_Lm4ESE_iEENS8_INS9_ISB_SC_Lm3ESE_iEESI_SC_Lm4ESE_iEESJ_T2_iiiiiiiiiiiiiii
		.amdhsa_group_segment_fixed_size 0
		.amdhsa_private_segment_fixed_size 0
		.amdhsa_kernarg_size 440
		.amdhsa_user_sgpr_count 6
		.amdhsa_user_sgpr_private_segment_buffer 1
		.amdhsa_user_sgpr_dispatch_ptr 0
		.amdhsa_user_sgpr_queue_ptr 0
		.amdhsa_user_sgpr_kernarg_segment_ptr 1
		.amdhsa_user_sgpr_dispatch_id 0
		.amdhsa_user_sgpr_flat_scratch_init 0
		.amdhsa_user_sgpr_private_segment_size 0
		.amdhsa_uses_dynamic_stack 0
		.amdhsa_system_sgpr_private_segment_wavefront_offset 0
		.amdhsa_system_sgpr_workgroup_id_x 1
		.amdhsa_system_sgpr_workgroup_id_y 0
		.amdhsa_system_sgpr_workgroup_id_z 0
		.amdhsa_system_sgpr_workgroup_info 0
		.amdhsa_system_vgpr_workitem_id 0
		.amdhsa_next_free_vgpr 15
		.amdhsa_next_free_sgpr 44
		.amdhsa_reserve_vcc 1
		.amdhsa_reserve_flat_scratch 0
		.amdhsa_float_round_mode_32 0
		.amdhsa_float_round_mode_16_64 0
		.amdhsa_float_denorm_mode_32 3
		.amdhsa_float_denorm_mode_16_64 3
		.amdhsa_dx10_clamp 1
		.amdhsa_ieee_mode 1
		.amdhsa_fp16_overflow 0
		.amdhsa_exception_fp_ieee_invalid_op 0
		.amdhsa_exception_fp_denorm_src 0
		.amdhsa_exception_fp_ieee_div_zero 0
		.amdhsa_exception_fp_ieee_overflow 0
		.amdhsa_exception_fp_ieee_underflow 0
		.amdhsa_exception_fp_ieee_inexact 0
		.amdhsa_exception_int_div_zero 0
	.end_amdhsa_kernel
	.section	.text._ZN2at6native12_GLOBAL__N_132conv_depthwise2d_backward_kernelILi1ELi2EN3c108BFloat16EiEEvN5torch10headeronly6detail27GenericPackedTensorAccessorINS7_14TensorAccessorINS3_8ArrayRefIlEEKT1_Lm3ENS6_16DefaultPtrTraitsEiEENS_6detail16IndexBoundsCheckILm4EiEESD_Lm4ESE_iEENS8_INS9_ISB_SC_Lm3ESE_iEESI_SC_Lm4ESE_iEESJ_T2_iiiiiiiiiiiiiii,"axG",@progbits,_ZN2at6native12_GLOBAL__N_132conv_depthwise2d_backward_kernelILi1ELi2EN3c108BFloat16EiEEvN5torch10headeronly6detail27GenericPackedTensorAccessorINS7_14TensorAccessorINS3_8ArrayRefIlEEKT1_Lm3ENS6_16DefaultPtrTraitsEiEENS_6detail16IndexBoundsCheckILm4EiEESD_Lm4ESE_iEENS8_INS9_ISB_SC_Lm3ESE_iEESI_SC_Lm4ESE_iEESJ_T2_iiiiiiiiiiiiiii,comdat
.Lfunc_end59:
	.size	_ZN2at6native12_GLOBAL__N_132conv_depthwise2d_backward_kernelILi1ELi2EN3c108BFloat16EiEEvN5torch10headeronly6detail27GenericPackedTensorAccessorINS7_14TensorAccessorINS3_8ArrayRefIlEEKT1_Lm3ENS6_16DefaultPtrTraitsEiEENS_6detail16IndexBoundsCheckILm4EiEESD_Lm4ESE_iEENS8_INS9_ISB_SC_Lm3ESE_iEESI_SC_Lm4ESE_iEESJ_T2_iiiiiiiiiiiiiii, .Lfunc_end59-_ZN2at6native12_GLOBAL__N_132conv_depthwise2d_backward_kernelILi1ELi2EN3c108BFloat16EiEEvN5torch10headeronly6detail27GenericPackedTensorAccessorINS7_14TensorAccessorINS3_8ArrayRefIlEEKT1_Lm3ENS6_16DefaultPtrTraitsEiEENS_6detail16IndexBoundsCheckILm4EiEESD_Lm4ESE_iEENS8_INS9_ISB_SC_Lm3ESE_iEESI_SC_Lm4ESE_iEESJ_T2_iiiiiiiiiiiiiii
                                        ; -- End function
	.set _ZN2at6native12_GLOBAL__N_132conv_depthwise2d_backward_kernelILi1ELi2EN3c108BFloat16EiEEvN5torch10headeronly6detail27GenericPackedTensorAccessorINS7_14TensorAccessorINS3_8ArrayRefIlEEKT1_Lm3ENS6_16DefaultPtrTraitsEiEENS_6detail16IndexBoundsCheckILm4EiEESD_Lm4ESE_iEENS8_INS9_ISB_SC_Lm3ESE_iEESI_SC_Lm4ESE_iEESJ_T2_iiiiiiiiiiiiiii.num_vgpr, 15
	.set _ZN2at6native12_GLOBAL__N_132conv_depthwise2d_backward_kernelILi1ELi2EN3c108BFloat16EiEEvN5torch10headeronly6detail27GenericPackedTensorAccessorINS7_14TensorAccessorINS3_8ArrayRefIlEEKT1_Lm3ENS6_16DefaultPtrTraitsEiEENS_6detail16IndexBoundsCheckILm4EiEESD_Lm4ESE_iEENS8_INS9_ISB_SC_Lm3ESE_iEESI_SC_Lm4ESE_iEESJ_T2_iiiiiiiiiiiiiii.num_agpr, 0
	.set _ZN2at6native12_GLOBAL__N_132conv_depthwise2d_backward_kernelILi1ELi2EN3c108BFloat16EiEEvN5torch10headeronly6detail27GenericPackedTensorAccessorINS7_14TensorAccessorINS3_8ArrayRefIlEEKT1_Lm3ENS6_16DefaultPtrTraitsEiEENS_6detail16IndexBoundsCheckILm4EiEESD_Lm4ESE_iEENS8_INS9_ISB_SC_Lm3ESE_iEESI_SC_Lm4ESE_iEESJ_T2_iiiiiiiiiiiiiii.numbered_sgpr, 44
	.set _ZN2at6native12_GLOBAL__N_132conv_depthwise2d_backward_kernelILi1ELi2EN3c108BFloat16EiEEvN5torch10headeronly6detail27GenericPackedTensorAccessorINS7_14TensorAccessorINS3_8ArrayRefIlEEKT1_Lm3ENS6_16DefaultPtrTraitsEiEENS_6detail16IndexBoundsCheckILm4EiEESD_Lm4ESE_iEENS8_INS9_ISB_SC_Lm3ESE_iEESI_SC_Lm4ESE_iEESJ_T2_iiiiiiiiiiiiiii.num_named_barrier, 0
	.set _ZN2at6native12_GLOBAL__N_132conv_depthwise2d_backward_kernelILi1ELi2EN3c108BFloat16EiEEvN5torch10headeronly6detail27GenericPackedTensorAccessorINS7_14TensorAccessorINS3_8ArrayRefIlEEKT1_Lm3ENS6_16DefaultPtrTraitsEiEENS_6detail16IndexBoundsCheckILm4EiEESD_Lm4ESE_iEENS8_INS9_ISB_SC_Lm3ESE_iEESI_SC_Lm4ESE_iEESJ_T2_iiiiiiiiiiiiiii.private_seg_size, 0
	.set _ZN2at6native12_GLOBAL__N_132conv_depthwise2d_backward_kernelILi1ELi2EN3c108BFloat16EiEEvN5torch10headeronly6detail27GenericPackedTensorAccessorINS7_14TensorAccessorINS3_8ArrayRefIlEEKT1_Lm3ENS6_16DefaultPtrTraitsEiEENS_6detail16IndexBoundsCheckILm4EiEESD_Lm4ESE_iEENS8_INS9_ISB_SC_Lm3ESE_iEESI_SC_Lm4ESE_iEESJ_T2_iiiiiiiiiiiiiii.uses_vcc, 1
	.set _ZN2at6native12_GLOBAL__N_132conv_depthwise2d_backward_kernelILi1ELi2EN3c108BFloat16EiEEvN5torch10headeronly6detail27GenericPackedTensorAccessorINS7_14TensorAccessorINS3_8ArrayRefIlEEKT1_Lm3ENS6_16DefaultPtrTraitsEiEENS_6detail16IndexBoundsCheckILm4EiEESD_Lm4ESE_iEENS8_INS9_ISB_SC_Lm3ESE_iEESI_SC_Lm4ESE_iEESJ_T2_iiiiiiiiiiiiiii.uses_flat_scratch, 0
	.set _ZN2at6native12_GLOBAL__N_132conv_depthwise2d_backward_kernelILi1ELi2EN3c108BFloat16EiEEvN5torch10headeronly6detail27GenericPackedTensorAccessorINS7_14TensorAccessorINS3_8ArrayRefIlEEKT1_Lm3ENS6_16DefaultPtrTraitsEiEENS_6detail16IndexBoundsCheckILm4EiEESD_Lm4ESE_iEENS8_INS9_ISB_SC_Lm3ESE_iEESI_SC_Lm4ESE_iEESJ_T2_iiiiiiiiiiiiiii.has_dyn_sized_stack, 0
	.set _ZN2at6native12_GLOBAL__N_132conv_depthwise2d_backward_kernelILi1ELi2EN3c108BFloat16EiEEvN5torch10headeronly6detail27GenericPackedTensorAccessorINS7_14TensorAccessorINS3_8ArrayRefIlEEKT1_Lm3ENS6_16DefaultPtrTraitsEiEENS_6detail16IndexBoundsCheckILm4EiEESD_Lm4ESE_iEENS8_INS9_ISB_SC_Lm3ESE_iEESI_SC_Lm4ESE_iEESJ_T2_iiiiiiiiiiiiiii.has_recursion, 0
	.set _ZN2at6native12_GLOBAL__N_132conv_depthwise2d_backward_kernelILi1ELi2EN3c108BFloat16EiEEvN5torch10headeronly6detail27GenericPackedTensorAccessorINS7_14TensorAccessorINS3_8ArrayRefIlEEKT1_Lm3ENS6_16DefaultPtrTraitsEiEENS_6detail16IndexBoundsCheckILm4EiEESD_Lm4ESE_iEENS8_INS9_ISB_SC_Lm3ESE_iEESI_SC_Lm4ESE_iEESJ_T2_iiiiiiiiiiiiiii.has_indirect_call, 0
	.section	.AMDGPU.csdata,"",@progbits
; Kernel info:
; codeLenInByte = 960
; TotalNumSgprs: 48
; NumVgprs: 15
; ScratchSize: 0
; MemoryBound: 0
; FloatMode: 240
; IeeeMode: 1
; LDSByteSize: 0 bytes/workgroup (compile time only)
; SGPRBlocks: 5
; VGPRBlocks: 3
; NumSGPRsForWavesPerEU: 48
; NumVGPRsForWavesPerEU: 15
; Occupancy: 10
; WaveLimiterHint : 0
; COMPUTE_PGM_RSRC2:SCRATCH_EN: 0
; COMPUTE_PGM_RSRC2:USER_SGPR: 6
; COMPUTE_PGM_RSRC2:TRAP_HANDLER: 0
; COMPUTE_PGM_RSRC2:TGID_X_EN: 1
; COMPUTE_PGM_RSRC2:TGID_Y_EN: 0
; COMPUTE_PGM_RSRC2:TGID_Z_EN: 0
; COMPUTE_PGM_RSRC2:TIDIG_COMP_CNT: 0
	.section	.text._ZN2at6native12_GLOBAL__N_132conv_depthwise2d_backward_kernelILi1ELi0EN3c108BFloat16EiEEvN5torch10headeronly6detail27GenericPackedTensorAccessorINS7_14TensorAccessorINS3_8ArrayRefIlEEKT1_Lm3ENS6_16DefaultPtrTraitsEiEENS_6detail16IndexBoundsCheckILm4EiEESD_Lm4ESE_iEENS8_INS9_ISB_SC_Lm3ESE_iEESI_SC_Lm4ESE_iEESJ_T2_iiiiiiiiiiiiiii,"axG",@progbits,_ZN2at6native12_GLOBAL__N_132conv_depthwise2d_backward_kernelILi1ELi0EN3c108BFloat16EiEEvN5torch10headeronly6detail27GenericPackedTensorAccessorINS7_14TensorAccessorINS3_8ArrayRefIlEEKT1_Lm3ENS6_16DefaultPtrTraitsEiEENS_6detail16IndexBoundsCheckILm4EiEESD_Lm4ESE_iEENS8_INS9_ISB_SC_Lm3ESE_iEESI_SC_Lm4ESE_iEESJ_T2_iiiiiiiiiiiiiii,comdat
	.globl	_ZN2at6native12_GLOBAL__N_132conv_depthwise2d_backward_kernelILi1ELi0EN3c108BFloat16EiEEvN5torch10headeronly6detail27GenericPackedTensorAccessorINS7_14TensorAccessorINS3_8ArrayRefIlEEKT1_Lm3ENS6_16DefaultPtrTraitsEiEENS_6detail16IndexBoundsCheckILm4EiEESD_Lm4ESE_iEENS8_INS9_ISB_SC_Lm3ESE_iEESI_SC_Lm4ESE_iEESJ_T2_iiiiiiiiiiiiiii ; -- Begin function _ZN2at6native12_GLOBAL__N_132conv_depthwise2d_backward_kernelILi1ELi0EN3c108BFloat16EiEEvN5torch10headeronly6detail27GenericPackedTensorAccessorINS7_14TensorAccessorINS3_8ArrayRefIlEEKT1_Lm3ENS6_16DefaultPtrTraitsEiEENS_6detail16IndexBoundsCheckILm4EiEESD_Lm4ESE_iEENS8_INS9_ISB_SC_Lm3ESE_iEESI_SC_Lm4ESE_iEESJ_T2_iiiiiiiiiiiiiii
	.p2align	8
	.type	_ZN2at6native12_GLOBAL__N_132conv_depthwise2d_backward_kernelILi1ELi0EN3c108BFloat16EiEEvN5torch10headeronly6detail27GenericPackedTensorAccessorINS7_14TensorAccessorINS3_8ArrayRefIlEEKT1_Lm3ENS6_16DefaultPtrTraitsEiEENS_6detail16IndexBoundsCheckILm4EiEESD_Lm4ESE_iEENS8_INS9_ISB_SC_Lm3ESE_iEESI_SC_Lm4ESE_iEESJ_T2_iiiiiiiiiiiiiii,@function
_ZN2at6native12_GLOBAL__N_132conv_depthwise2d_backward_kernelILi1ELi0EN3c108BFloat16EiEEvN5torch10headeronly6detail27GenericPackedTensorAccessorINS7_14TensorAccessorINS3_8ArrayRefIlEEKT1_Lm3ENS6_16DefaultPtrTraitsEiEENS_6detail16IndexBoundsCheckILm4EiEESD_Lm4ESE_iEENS8_INS9_ISB_SC_Lm3ESE_iEESI_SC_Lm4ESE_iEESJ_T2_iiiiiiiiiiiiiii: ; @_ZN2at6native12_GLOBAL__N_132conv_depthwise2d_backward_kernelILi1ELi0EN3c108BFloat16EiEEvN5torch10headeronly6detail27GenericPackedTensorAccessorINS7_14TensorAccessorINS3_8ArrayRefIlEEKT1_Lm3ENS6_16DefaultPtrTraitsEiEENS_6detail16IndexBoundsCheckILm4EiEESD_Lm4ESE_iEENS8_INS9_ISB_SC_Lm3ESE_iEESI_SC_Lm4ESE_iEESJ_T2_iiiiiiiiiiiiiii
; %bb.0:
	s_load_dword s2, s[4:5], 0xc4
	s_load_dwordx8 s[8:15], s[4:5], 0x78
	s_add_u32 s0, s4, 0xb8
	s_addc_u32 s1, s5, 0
	v_mov_b32_e32 v1, 0
	s_waitcnt lgkmcnt(0)
	s_and_b32 s2, s2, 0xffff
	v_mov_b32_e32 v2, s6
	v_mad_u64_u32 v[0:1], s[6:7], s2, v2, v[0:1]
	s_ashr_i32 s21, s8, 31
	s_mov_b32 s20, s8
	v_cmp_gt_i64_e32 vcc, s[20:21], v[0:1]
	s_and_saveexec_b64 s[6:7], vcc
	s_cbranch_execz .LBB60_13
; %bb.1:
	s_cmp_gt_i32 s10, 0
	s_load_dwordx4 s[16:19], s[4:5], 0x98
	s_load_dwordx2 s[22:23], s[4:5], 0xa8
	s_load_dword s3, s[0:1], 0x0
	s_cselect_b64 s[0:1], -1, 0
	s_abs_i32 s8, s12
	v_cvt_f32_u32_e32 v2, s8
	s_abs_i32 s33, s13
	v_cvt_f32_u32_e32 v3, s33
	s_waitcnt lgkmcnt(0)
	s_mul_i32 s38, s3, s2
	v_rcp_iflag_f32_e32 v2, v2
	s_sub_i32 s2, 0, s8
	v_rcp_iflag_f32_e32 v3, v3
	s_abs_i32 s40, s9
	v_mul_f32_e32 v2, 0x4f7ffffe, v2
	v_cvt_u32_f32_e32 v2, v2
	v_mul_f32_e32 v3, 0x4f7ffffe, v3
	v_cvt_f32_u32_e32 v5, s40
	v_cvt_u32_f32_e32 v3, v3
	v_mul_lo_u32 v4, s2, v2
	s_sub_i32 s2, 0, s33
	v_rcp_iflag_f32_e32 v5, v5
	v_mul_lo_u32 v7, s2, v3
	v_mul_hi_u32 v4, v2, v4
	s_abs_i32 s42, s19
	s_abs_i32 s43, s18
	v_cvt_f32_u32_e32 v8, s43
	v_add_u32_e32 v6, v2, v4
	v_mul_f32_e32 v4, 0x4f7ffffe, v5
	v_cvt_f32_u32_e32 v5, s42
	v_mul_hi_u32 v2, v3, v7
	v_cvt_u32_f32_e32 v4, v4
	s_sub_i32 s2, 0, s40
	v_rcp_iflag_f32_e32 v5, v5
	v_add_u32_e32 v7, v3, v2
	v_rcp_iflag_f32_e32 v2, v8
	v_mul_lo_u32 v9, s2, v4
	v_mul_f32_e32 v5, 0x4f7ffffe, v5
	v_cvt_u32_f32_e32 v5, v5
	v_mul_f32_e32 v2, 0x4f7ffffe, v2
	v_cvt_u32_f32_e32 v2, v2
	s_sub_i32 s2, 0, s42
	v_mul_lo_u32 v8, s2, v5
	s_sub_i32 s2, 0, s43
	v_mul_hi_u32 v3, v4, v9
	v_mul_lo_u32 v9, s2, v2
	s_load_dwordx2 s[24:25], s[4:5], 0x0
	s_load_dwordx2 s[26:27], s[4:5], 0x28
	;; [unrolled: 1-line block ×3, first 2 shown]
	v_mul_hi_u32 v10, v5, v8
	v_add_u32_e32 v8, v4, v3
	v_mul_hi_u32 v3, v2, v9
	s_mul_i32 s47, s17, s16
	v_add_u32_e32 v9, v5, v10
	s_ashr_i32 s39, s12, 31
	v_add_u32_e32 v10, v2, v3
	v_cndmask_b32_e64 v2, 0, 1, s[0:1]
	s_ashr_i32 s41, s13, 31
	s_ashr_i32 s44, s9, 31
	s_ashr_i32 s45, s19, 31
	s_ashr_i32 s46, s18, 31
	s_mul_i32 s48, s47, s10
	s_mul_i32 s49, s15, s14
	s_mov_b64 s[16:17], 0
	s_movk_i32 s50, 0x7fff
	v_cmp_ne_u32_e64 s[0:1], 1, v2
	v_mov_b32_e32 v11, 0x7fc0
	s_branch .LBB60_4
.LBB60_2:                               ;   in Loop: Header=BB60_4 Depth=1
	v_mov_b32_e32 v12, 0
.LBB60_3:                               ;   in Loop: Header=BB60_4 Depth=1
	v_bfe_u32 v2, v12, 16, 1
	v_add3_u32 v2, v12, v2, s50
	v_cmp_o_f32_e32 vcc, v12, v12
	v_cndmask_b32_sdwa v4, v11, v2, vcc dst_sel:DWORD dst_unused:UNUSED_PAD src0_sel:DWORD src1_sel:WORD_1
	v_lshlrev_b64 v[2:3], 1, v[0:1]
	v_add_co_u32_e32 v0, vcc, s38, v0
	v_addc_co_u32_e32 v1, vcc, 0, v1, vcc
	v_cmp_le_i64_e32 vcc, s[20:21], v[0:1]
	s_waitcnt lgkmcnt(0)
	v_mov_b32_e32 v5, s27
	v_add_co_u32_e64 v2, s[2:3], s26, v2
	v_addc_co_u32_e64 v3, s[2:3], v5, v3, s[2:3]
	s_or_b64 s[16:17], vcc, s[16:17]
	global_store_short v[2:3], v4, off
	s_andn2_b64 exec, exec, s[16:17]
	s_cbranch_execz .LBB60_13
.LBB60_4:                               ; =>This Loop Header: Depth=1
                                        ;     Child Loop BB60_9 Depth 2
	s_and_b64 vcc, exec, s[0:1]
	s_cbranch_vccnz .LBB60_2
; %bb.5:                                ;   in Loop: Header=BB60_4 Depth=1
	v_sub_u32_e32 v2, 0, v0
	v_max_i32_e32 v2, v0, v2
	v_mul_hi_u32 v3, v2, v6
	v_ashrrev_i32_e32 v5, 31, v0
	v_xor_b32_e32 v5, s39, v5
	s_mov_b32 s51, s10
	v_mul_lo_u32 v4, v3, s8
	v_add_u32_e32 v12, 1, v3
	v_sub_u32_e32 v2, v2, v4
	v_cmp_le_u32_e32 vcc, s8, v2
	v_subrev_u32_e32 v4, s8, v2
	v_cndmask_b32_e32 v3, v3, v12, vcc
	v_cndmask_b32_e32 v2, v2, v4, vcc
	v_add_u32_e32 v4, 1, v3
	v_cmp_le_u32_e32 vcc, s8, v2
	v_cndmask_b32_e32 v2, v3, v4, vcc
	v_xor_b32_e32 v2, v2, v5
	v_sub_u32_e32 v2, v2, v5
	v_sub_u32_e32 v3, 0, v2
	v_max_i32_e32 v3, v2, v3
	v_mul_hi_u32 v4, v3, v7
	v_ashrrev_i32_e32 v12, 31, v2
	v_xor_b32_e32 v12, s41, v12
	v_mul_lo_u32 v5, v4, s33
	v_add_u32_e32 v13, 1, v4
	v_sub_u32_e32 v3, v3, v5
	v_cmp_le_u32_e32 vcc, s33, v3
	v_subrev_u32_e32 v5, s33, v3
	v_cndmask_b32_e32 v4, v4, v13, vcc
	v_cndmask_b32_e32 v3, v3, v5, vcc
	v_add_u32_e32 v5, 1, v4
	v_cmp_le_u32_e32 vcc, s33, v3
	v_cndmask_b32_e32 v3, v4, v5, vcc
	v_xor_b32_e32 v3, v3, v12
	v_sub_u32_e32 v3, v3, v12
	v_sub_u32_e32 v4, 0, v3
	v_max_i32_e32 v4, v3, v4
	v_mul_hi_u32 v5, v4, v8
	v_ashrrev_i32_e32 v13, 31, v3
	v_xor_b32_e32 v13, s44, v13
	v_mul_lo_u32 v12, v5, s40
	v_add_u32_e32 v14, 1, v5
	v_sub_u32_e32 v4, v4, v12
	v_cmp_le_u32_e32 vcc, s40, v4
	v_cndmask_b32_e32 v5, v5, v14, vcc
	v_mul_lo_u32 v14, v3, s13
	v_subrev_u32_e32 v12, s40, v4
	v_cndmask_b32_e32 v4, v4, v12, vcc
	v_add_u32_e32 v12, 1, v5
	v_cmp_le_u32_e32 vcc, s40, v4
	v_cndmask_b32_e32 v4, v5, v12, vcc
	v_sub_u32_e32 v5, v2, v14
	v_add_u32_e32 v5, s23, v5
	v_sub_u32_e32 v12, 0, v5
	v_max_i32_e32 v12, v5, v12
	v_mul_hi_u32 v14, v12, v9
	v_mul_lo_u32 v2, v2, s12
	v_xor_b32_e32 v4, v4, v13
	v_sub_u32_e32 v4, v4, v13
	v_mul_lo_u32 v15, v14, s42
	v_sub_u32_e32 v2, v0, v2
	v_add_u32_e32 v16, s22, v2
	v_ashrrev_i32_e32 v2, 31, v5
	v_xor_b32_e32 v17, s45, v2
	v_sub_u32_e32 v2, v12, v15
	v_add_u32_e32 v12, 1, v14
	v_cmp_le_u32_e32 vcc, s42, v2
	v_cndmask_b32_e32 v12, v14, v12, vcc
	v_subrev_u32_e32 v14, s42, v2
	v_cndmask_b32_e32 v2, v2, v14, vcc
	v_add_u32_e32 v14, 1, v12
	v_cmp_le_u32_e32 vcc, s42, v2
	v_cndmask_b32_e32 v2, v12, v14, vcc
	v_sub_u32_e32 v14, 0, v16
	v_max_i32_e32 v14, v16, v14
	v_mul_lo_u32 v13, v4, s9
	v_mul_hi_u32 v15, v14, v10
	v_xor_b32_e32 v2, v2, v17
	v_sub_u32_e32 v12, v2, v17
	v_sub_u32_e32 v13, v3, v13
	v_mul_lo_u32 v3, v15, s43
	v_mul_lo_u32 v18, v12, s19
	;; [unrolled: 1-line block ×3, first 2 shown]
	v_sub_u32_e32 v3, v14, v3
	v_add_u32_e32 v14, 1, v15
	v_cmp_le_u32_e32 vcc, s43, v3
	v_cndmask_b32_e32 v14, v15, v14, vcc
	v_subrev_u32_e32 v15, s43, v3
	v_cndmask_b32_e32 v3, v3, v15, vcc
	v_sub_u32_e32 v5, v5, v18
	v_ashrrev_i32_e32 v18, 31, v16
	v_add_u32_e32 v15, 1, v14
	v_cmp_le_u32_e32 vcc, s43, v3
	v_xor_b32_e32 v18, s46, v18
	v_cndmask_b32_e32 v3, v14, v15, vcc
	v_xor_b32_e32 v3, v3, v18
	v_sub_u32_e32 v14, v3, v18
	v_mul_lo_u32 v15, v14, s18
	v_cmp_eq_u32_e32 vcc, 0, v5
	v_cmp_gt_i32_e64 s[6:7], s14, v14
	v_sub_u32_e32 v5, v16, v15
	v_cmp_eq_u32_e64 s[2:3], 0, v5
	v_mad_u64_u32 v[4:5], s[4:5], v13, s10, v[4:5]
	v_cmp_lt_i32_e64 s[4:5], -1, v12
	s_and_b64 s[30:31], s[2:3], s[4:5]
	v_mad_u64_u32 v[4:5], s[2:3], s15, v4, v[2:3]
	v_cmp_lt_i32_e64 s[4:5], -1, v14
	v_cmp_gt_i32_e64 s[2:3], s15, v12
	v_sub_u32_e32 v2, v4, v17
	v_mad_u64_u32 v[3:4], s[34:35], s14, v2, v[3:4]
	v_mul_lo_u32 v2, s48, v13
	s_and_b64 s[4:5], s[4:5], s[6:7]
	s_and_b64 s[4:5], s[2:3], s[4:5]
	v_sub_u32_e32 v4, v3, v18
	v_mov_b32_e32 v12, 0
	s_branch .LBB60_9
.LBB60_6:                               ;   in Loop: Header=BB60_9 Depth=2
	s_or_b64 exec, exec, s[36:37]
.LBB60_7:                               ;   in Loop: Header=BB60_9 Depth=2
	s_or_b64 exec, exec, s[34:35]
.LBB60_8:                               ;   in Loop: Header=BB60_9 Depth=2
	s_or_b64 exec, exec, s[6:7]
	s_add_i32 s51, s51, -1
	v_add_u32_e32 v2, s47, v2
	s_cmp_eq_u32 s51, 0
	v_add_u32_e32 v4, s49, v4
	s_cbranch_scc1 .LBB60_3
.LBB60_9:                               ;   Parent Loop BB60_4 Depth=1
                                        ; =>  This Inner Loop Header: Depth=2
	s_and_saveexec_b64 s[6:7], vcc
	s_cbranch_execz .LBB60_8
; %bb.10:                               ;   in Loop: Header=BB60_9 Depth=2
	s_and_saveexec_b64 s[34:35], s[30:31]
	s_cbranch_execz .LBB60_7
; %bb.11:                               ;   in Loop: Header=BB60_9 Depth=2
	s_and_saveexec_b64 s[36:37], s[4:5]
	s_cbranch_execz .LBB60_6
; %bb.12:                               ;   in Loop: Header=BB60_9 Depth=2
	v_ashrrev_i32_e32 v3, 31, v2
	v_lshlrev_b64 v[13:14], 1, v[2:3]
	v_ashrrev_i32_e32 v5, 31, v4
	s_waitcnt lgkmcnt(0)
	v_mov_b32_e32 v3, s29
	v_add_co_u32_e64 v13, s[2:3], s28, v13
	v_lshlrev_b64 v[15:16], 1, v[4:5]
	v_addc_co_u32_e64 v14, s[2:3], v3, v14, s[2:3]
	v_mov_b32_e32 v3, s25
	v_add_co_u32_e64 v15, s[2:3], s24, v15
	v_addc_co_u32_e64 v16, s[2:3], v3, v16, s[2:3]
	global_load_ushort v3, v[15:16], off
	global_load_ushort v5, v[13:14], off
	s_waitcnt vmcnt(1)
	v_lshlrev_b32_e32 v3, 16, v3
	s_waitcnt vmcnt(0)
	v_lshlrev_b32_e32 v5, 16, v5
	v_fmac_f32_e32 v12, v5, v3
	s_branch .LBB60_6
.LBB60_13:
	s_endpgm
	.section	.rodata,"a",@progbits
	.p2align	6, 0x0
	.amdhsa_kernel _ZN2at6native12_GLOBAL__N_132conv_depthwise2d_backward_kernelILi1ELi0EN3c108BFloat16EiEEvN5torch10headeronly6detail27GenericPackedTensorAccessorINS7_14TensorAccessorINS3_8ArrayRefIlEEKT1_Lm3ENS6_16DefaultPtrTraitsEiEENS_6detail16IndexBoundsCheckILm4EiEESD_Lm4ESE_iEENS8_INS9_ISB_SC_Lm3ESE_iEESI_SC_Lm4ESE_iEESJ_T2_iiiiiiiiiiiiiii
		.amdhsa_group_segment_fixed_size 0
		.amdhsa_private_segment_fixed_size 0
		.amdhsa_kernarg_size 440
		.amdhsa_user_sgpr_count 6
		.amdhsa_user_sgpr_private_segment_buffer 1
		.amdhsa_user_sgpr_dispatch_ptr 0
		.amdhsa_user_sgpr_queue_ptr 0
		.amdhsa_user_sgpr_kernarg_segment_ptr 1
		.amdhsa_user_sgpr_dispatch_id 0
		.amdhsa_user_sgpr_flat_scratch_init 0
		.amdhsa_user_sgpr_private_segment_size 0
		.amdhsa_uses_dynamic_stack 0
		.amdhsa_system_sgpr_private_segment_wavefront_offset 0
		.amdhsa_system_sgpr_workgroup_id_x 1
		.amdhsa_system_sgpr_workgroup_id_y 0
		.amdhsa_system_sgpr_workgroup_id_z 0
		.amdhsa_system_sgpr_workgroup_info 0
		.amdhsa_system_vgpr_workitem_id 0
		.amdhsa_next_free_vgpr 19
		.amdhsa_next_free_sgpr 52
		.amdhsa_reserve_vcc 1
		.amdhsa_reserve_flat_scratch 0
		.amdhsa_float_round_mode_32 0
		.amdhsa_float_round_mode_16_64 0
		.amdhsa_float_denorm_mode_32 3
		.amdhsa_float_denorm_mode_16_64 3
		.amdhsa_dx10_clamp 1
		.amdhsa_ieee_mode 1
		.amdhsa_fp16_overflow 0
		.amdhsa_exception_fp_ieee_invalid_op 0
		.amdhsa_exception_fp_denorm_src 0
		.amdhsa_exception_fp_ieee_div_zero 0
		.amdhsa_exception_fp_ieee_overflow 0
		.amdhsa_exception_fp_ieee_underflow 0
		.amdhsa_exception_fp_ieee_inexact 0
		.amdhsa_exception_int_div_zero 0
	.end_amdhsa_kernel
	.section	.text._ZN2at6native12_GLOBAL__N_132conv_depthwise2d_backward_kernelILi1ELi0EN3c108BFloat16EiEEvN5torch10headeronly6detail27GenericPackedTensorAccessorINS7_14TensorAccessorINS3_8ArrayRefIlEEKT1_Lm3ENS6_16DefaultPtrTraitsEiEENS_6detail16IndexBoundsCheckILm4EiEESD_Lm4ESE_iEENS8_INS9_ISB_SC_Lm3ESE_iEESI_SC_Lm4ESE_iEESJ_T2_iiiiiiiiiiiiiii,"axG",@progbits,_ZN2at6native12_GLOBAL__N_132conv_depthwise2d_backward_kernelILi1ELi0EN3c108BFloat16EiEEvN5torch10headeronly6detail27GenericPackedTensorAccessorINS7_14TensorAccessorINS3_8ArrayRefIlEEKT1_Lm3ENS6_16DefaultPtrTraitsEiEENS_6detail16IndexBoundsCheckILm4EiEESD_Lm4ESE_iEENS8_INS9_ISB_SC_Lm3ESE_iEESI_SC_Lm4ESE_iEESJ_T2_iiiiiiiiiiiiiii,comdat
.Lfunc_end60:
	.size	_ZN2at6native12_GLOBAL__N_132conv_depthwise2d_backward_kernelILi1ELi0EN3c108BFloat16EiEEvN5torch10headeronly6detail27GenericPackedTensorAccessorINS7_14TensorAccessorINS3_8ArrayRefIlEEKT1_Lm3ENS6_16DefaultPtrTraitsEiEENS_6detail16IndexBoundsCheckILm4EiEESD_Lm4ESE_iEENS8_INS9_ISB_SC_Lm3ESE_iEESI_SC_Lm4ESE_iEESJ_T2_iiiiiiiiiiiiiii, .Lfunc_end60-_ZN2at6native12_GLOBAL__N_132conv_depthwise2d_backward_kernelILi1ELi0EN3c108BFloat16EiEEvN5torch10headeronly6detail27GenericPackedTensorAccessorINS7_14TensorAccessorINS3_8ArrayRefIlEEKT1_Lm3ENS6_16DefaultPtrTraitsEiEENS_6detail16IndexBoundsCheckILm4EiEESD_Lm4ESE_iEENS8_INS9_ISB_SC_Lm3ESE_iEESI_SC_Lm4ESE_iEESJ_T2_iiiiiiiiiiiiiii
                                        ; -- End function
	.set _ZN2at6native12_GLOBAL__N_132conv_depthwise2d_backward_kernelILi1ELi0EN3c108BFloat16EiEEvN5torch10headeronly6detail27GenericPackedTensorAccessorINS7_14TensorAccessorINS3_8ArrayRefIlEEKT1_Lm3ENS6_16DefaultPtrTraitsEiEENS_6detail16IndexBoundsCheckILm4EiEESD_Lm4ESE_iEENS8_INS9_ISB_SC_Lm3ESE_iEESI_SC_Lm4ESE_iEESJ_T2_iiiiiiiiiiiiiii.num_vgpr, 19
	.set _ZN2at6native12_GLOBAL__N_132conv_depthwise2d_backward_kernelILi1ELi0EN3c108BFloat16EiEEvN5torch10headeronly6detail27GenericPackedTensorAccessorINS7_14TensorAccessorINS3_8ArrayRefIlEEKT1_Lm3ENS6_16DefaultPtrTraitsEiEENS_6detail16IndexBoundsCheckILm4EiEESD_Lm4ESE_iEENS8_INS9_ISB_SC_Lm3ESE_iEESI_SC_Lm4ESE_iEESJ_T2_iiiiiiiiiiiiiii.num_agpr, 0
	.set _ZN2at6native12_GLOBAL__N_132conv_depthwise2d_backward_kernelILi1ELi0EN3c108BFloat16EiEEvN5torch10headeronly6detail27GenericPackedTensorAccessorINS7_14TensorAccessorINS3_8ArrayRefIlEEKT1_Lm3ENS6_16DefaultPtrTraitsEiEENS_6detail16IndexBoundsCheckILm4EiEESD_Lm4ESE_iEENS8_INS9_ISB_SC_Lm3ESE_iEESI_SC_Lm4ESE_iEESJ_T2_iiiiiiiiiiiiiii.numbered_sgpr, 52
	.set _ZN2at6native12_GLOBAL__N_132conv_depthwise2d_backward_kernelILi1ELi0EN3c108BFloat16EiEEvN5torch10headeronly6detail27GenericPackedTensorAccessorINS7_14TensorAccessorINS3_8ArrayRefIlEEKT1_Lm3ENS6_16DefaultPtrTraitsEiEENS_6detail16IndexBoundsCheckILm4EiEESD_Lm4ESE_iEENS8_INS9_ISB_SC_Lm3ESE_iEESI_SC_Lm4ESE_iEESJ_T2_iiiiiiiiiiiiiii.num_named_barrier, 0
	.set _ZN2at6native12_GLOBAL__N_132conv_depthwise2d_backward_kernelILi1ELi0EN3c108BFloat16EiEEvN5torch10headeronly6detail27GenericPackedTensorAccessorINS7_14TensorAccessorINS3_8ArrayRefIlEEKT1_Lm3ENS6_16DefaultPtrTraitsEiEENS_6detail16IndexBoundsCheckILm4EiEESD_Lm4ESE_iEENS8_INS9_ISB_SC_Lm3ESE_iEESI_SC_Lm4ESE_iEESJ_T2_iiiiiiiiiiiiiii.private_seg_size, 0
	.set _ZN2at6native12_GLOBAL__N_132conv_depthwise2d_backward_kernelILi1ELi0EN3c108BFloat16EiEEvN5torch10headeronly6detail27GenericPackedTensorAccessorINS7_14TensorAccessorINS3_8ArrayRefIlEEKT1_Lm3ENS6_16DefaultPtrTraitsEiEENS_6detail16IndexBoundsCheckILm4EiEESD_Lm4ESE_iEENS8_INS9_ISB_SC_Lm3ESE_iEESI_SC_Lm4ESE_iEESJ_T2_iiiiiiiiiiiiiii.uses_vcc, 1
	.set _ZN2at6native12_GLOBAL__N_132conv_depthwise2d_backward_kernelILi1ELi0EN3c108BFloat16EiEEvN5torch10headeronly6detail27GenericPackedTensorAccessorINS7_14TensorAccessorINS3_8ArrayRefIlEEKT1_Lm3ENS6_16DefaultPtrTraitsEiEENS_6detail16IndexBoundsCheckILm4EiEESD_Lm4ESE_iEENS8_INS9_ISB_SC_Lm3ESE_iEESI_SC_Lm4ESE_iEESJ_T2_iiiiiiiiiiiiiii.uses_flat_scratch, 0
	.set _ZN2at6native12_GLOBAL__N_132conv_depthwise2d_backward_kernelILi1ELi0EN3c108BFloat16EiEEvN5torch10headeronly6detail27GenericPackedTensorAccessorINS7_14TensorAccessorINS3_8ArrayRefIlEEKT1_Lm3ENS6_16DefaultPtrTraitsEiEENS_6detail16IndexBoundsCheckILm4EiEESD_Lm4ESE_iEENS8_INS9_ISB_SC_Lm3ESE_iEESI_SC_Lm4ESE_iEESJ_T2_iiiiiiiiiiiiiii.has_dyn_sized_stack, 0
	.set _ZN2at6native12_GLOBAL__N_132conv_depthwise2d_backward_kernelILi1ELi0EN3c108BFloat16EiEEvN5torch10headeronly6detail27GenericPackedTensorAccessorINS7_14TensorAccessorINS3_8ArrayRefIlEEKT1_Lm3ENS6_16DefaultPtrTraitsEiEENS_6detail16IndexBoundsCheckILm4EiEESD_Lm4ESE_iEENS8_INS9_ISB_SC_Lm3ESE_iEESI_SC_Lm4ESE_iEESJ_T2_iiiiiiiiiiiiiii.has_recursion, 0
	.set _ZN2at6native12_GLOBAL__N_132conv_depthwise2d_backward_kernelILi1ELi0EN3c108BFloat16EiEEvN5torch10headeronly6detail27GenericPackedTensorAccessorINS7_14TensorAccessorINS3_8ArrayRefIlEEKT1_Lm3ENS6_16DefaultPtrTraitsEiEENS_6detail16IndexBoundsCheckILm4EiEESD_Lm4ESE_iEENS8_INS9_ISB_SC_Lm3ESE_iEESI_SC_Lm4ESE_iEESJ_T2_iiiiiiiiiiiiiii.has_indirect_call, 0
	.section	.AMDGPU.csdata,"",@progbits
; Kernel info:
; codeLenInByte = 1284
; TotalNumSgprs: 56
; NumVgprs: 19
; ScratchSize: 0
; MemoryBound: 0
; FloatMode: 240
; IeeeMode: 1
; LDSByteSize: 0 bytes/workgroup (compile time only)
; SGPRBlocks: 6
; VGPRBlocks: 4
; NumSGPRsForWavesPerEU: 56
; NumVGPRsForWavesPerEU: 19
; Occupancy: 10
; WaveLimiterHint : 0
; COMPUTE_PGM_RSRC2:SCRATCH_EN: 0
; COMPUTE_PGM_RSRC2:USER_SGPR: 6
; COMPUTE_PGM_RSRC2:TRAP_HANDLER: 0
; COMPUTE_PGM_RSRC2:TGID_X_EN: 1
; COMPUTE_PGM_RSRC2:TGID_Y_EN: 0
; COMPUTE_PGM_RSRC2:TGID_Z_EN: 0
; COMPUTE_PGM_RSRC2:TIDIG_COMP_CNT: 0
	.section	.text._ZN2at6native12_GLOBAL__N_132conv_depthwise2d_backward_kernelILi0ELi1EN3c108BFloat16EiEEvN5torch10headeronly6detail27GenericPackedTensorAccessorINS7_14TensorAccessorINS3_8ArrayRefIlEEKT1_Lm3ENS6_16DefaultPtrTraitsEiEENS_6detail16IndexBoundsCheckILm4EiEESD_Lm4ESE_iEENS8_INS9_ISB_SC_Lm3ESE_iEESI_SC_Lm4ESE_iEESJ_T2_iiiiiiiiiiiiiii,"axG",@progbits,_ZN2at6native12_GLOBAL__N_132conv_depthwise2d_backward_kernelILi0ELi1EN3c108BFloat16EiEEvN5torch10headeronly6detail27GenericPackedTensorAccessorINS7_14TensorAccessorINS3_8ArrayRefIlEEKT1_Lm3ENS6_16DefaultPtrTraitsEiEENS_6detail16IndexBoundsCheckILm4EiEESD_Lm4ESE_iEENS8_INS9_ISB_SC_Lm3ESE_iEESI_SC_Lm4ESE_iEESJ_T2_iiiiiiiiiiiiiii,comdat
	.globl	_ZN2at6native12_GLOBAL__N_132conv_depthwise2d_backward_kernelILi0ELi1EN3c108BFloat16EiEEvN5torch10headeronly6detail27GenericPackedTensorAccessorINS7_14TensorAccessorINS3_8ArrayRefIlEEKT1_Lm3ENS6_16DefaultPtrTraitsEiEENS_6detail16IndexBoundsCheckILm4EiEESD_Lm4ESE_iEENS8_INS9_ISB_SC_Lm3ESE_iEESI_SC_Lm4ESE_iEESJ_T2_iiiiiiiiiiiiiii ; -- Begin function _ZN2at6native12_GLOBAL__N_132conv_depthwise2d_backward_kernelILi0ELi1EN3c108BFloat16EiEEvN5torch10headeronly6detail27GenericPackedTensorAccessorINS7_14TensorAccessorINS3_8ArrayRefIlEEKT1_Lm3ENS6_16DefaultPtrTraitsEiEENS_6detail16IndexBoundsCheckILm4EiEESD_Lm4ESE_iEENS8_INS9_ISB_SC_Lm3ESE_iEESI_SC_Lm4ESE_iEESJ_T2_iiiiiiiiiiiiiii
	.p2align	8
	.type	_ZN2at6native12_GLOBAL__N_132conv_depthwise2d_backward_kernelILi0ELi1EN3c108BFloat16EiEEvN5torch10headeronly6detail27GenericPackedTensorAccessorINS7_14TensorAccessorINS3_8ArrayRefIlEEKT1_Lm3ENS6_16DefaultPtrTraitsEiEENS_6detail16IndexBoundsCheckILm4EiEESD_Lm4ESE_iEENS8_INS9_ISB_SC_Lm3ESE_iEESI_SC_Lm4ESE_iEESJ_T2_iiiiiiiiiiiiiii,@function
_ZN2at6native12_GLOBAL__N_132conv_depthwise2d_backward_kernelILi0ELi1EN3c108BFloat16EiEEvN5torch10headeronly6detail27GenericPackedTensorAccessorINS7_14TensorAccessorINS3_8ArrayRefIlEEKT1_Lm3ENS6_16DefaultPtrTraitsEiEENS_6detail16IndexBoundsCheckILm4EiEESD_Lm4ESE_iEENS8_INS9_ISB_SC_Lm3ESE_iEESI_SC_Lm4ESE_iEESJ_T2_iiiiiiiiiiiiiii: ; @_ZN2at6native12_GLOBAL__N_132conv_depthwise2d_backward_kernelILi0ELi1EN3c108BFloat16EiEEvN5torch10headeronly6detail27GenericPackedTensorAccessorINS7_14TensorAccessorINS3_8ArrayRefIlEEKT1_Lm3ENS6_16DefaultPtrTraitsEiEENS_6detail16IndexBoundsCheckILm4EiEESD_Lm4ESE_iEENS8_INS9_ISB_SC_Lm3ESE_iEESI_SC_Lm4ESE_iEESJ_T2_iiiiiiiiiiiiiii
; %bb.0:
	s_load_dword s2, s[4:5], 0xc4
	s_load_dwordx8 s[8:15], s[4:5], 0x78
	s_add_u32 s0, s4, 0xb8
	s_addc_u32 s1, s5, 0
	v_mov_b32_e32 v1, 0
	s_waitcnt lgkmcnt(0)
	s_and_b32 s2, s2, 0xffff
	v_mov_b32_e32 v2, s6
	v_mad_u64_u32 v[1:2], s[16:17], s2, v2, v[0:1]
	s_ashr_i32 s21, s8, 31
	s_mov_b32 s20, s8
	v_cmp_gt_i64_e32 vcc, s[20:21], v[1:2]
	s_and_saveexec_b64 s[16:17], vcc
	s_cbranch_execz .LBB61_17
; %bb.1:
	s_load_dwordx2 s[22:23], s[4:5], 0x98
	s_load_dwordx2 s[24:25], s[4:5], 0x50
	s_cmp_gt_i32 s10, 0
	s_cselect_b64 s[38:39], -1, 0
	s_load_dwordx2 s[30:31], s[4:5], 0x0
	s_load_dwordx2 s[34:35], s[4:5], 0x28
	s_waitcnt lgkmcnt(0)
	s_cmp_gt_i32 s23, 0
	s_cselect_b64 s[26:27], -1, 0
	s_cmp_gt_i32 s22, 0
	s_cselect_b64 s[28:29], -1, 0
	s_abs_i32 s8, s12
	v_cvt_f32_u32_e32 v3, s8
	s_abs_i32 s33, s13
	v_cvt_f32_u32_e32 v4, s33
	s_abs_i32 s40, s9
	v_rcp_iflag_f32_e32 v3, v3
	v_cvt_f32_u32_e32 v5, s40
	v_rcp_iflag_f32_e32 v4, v4
	s_load_dwordx4 s[16:19], s[4:5], 0xa8
	s_load_dword s3, s[0:1], 0x0
	v_mul_f32_e32 v3, 0x4f7ffffe, v3
	v_rcp_iflag_f32_e32 v5, v5
	v_cvt_u32_f32_e32 v3, v3
	v_mul_f32_e32 v4, 0x4f7ffffe, v4
	s_sub_i32 s0, 0, s8
	v_cvt_u32_f32_e32 v4, v4
	v_mul_f32_e32 v5, 0x4f7ffffe, v5
	v_mul_lo_u32 v6, s0, v3
	v_cvt_u32_f32_e32 v5, v5
	s_sub_i32 s0, 0, s33
	v_mul_lo_u32 v7, s0, v4
	s_sub_i32 s0, 0, s40
	v_mul_hi_u32 v6, v3, v6
	v_mul_lo_u32 v8, s0, v5
	v_mul_hi_u32 v7, v4, v7
	s_mul_i32 s0, s6, s2
	v_add_u32_e32 v6, v3, v6
	v_mul_hi_u32 v3, v5, v8
	s_waitcnt lgkmcnt(0)
	s_add_i32 s0, s0, s16
	s_mul_i32 s16, s23, s22
	s_mul_i32 s41, s3, s2
	v_add_u32_e32 v8, v5, v3
	v_cndmask_b32_e64 v3, 0, 1, s[38:39]
	s_ashr_i32 s42, s12, 31
	s_ashr_i32 s43, s13, 31
	v_add_u32_e32 v7, v4, v7
	s_ashr_i32 s44, s9, 31
	s_mul_i32 s45, s15, s14
	s_mul_i32 s46, s19, s14
	v_add_u32_e32 v0, s0, v0
	s_mul_i32 s47, s16, s10
	s_max_i32 s48, s22, 0
	s_mov_b64 s[36:37], 0
	s_movk_i32 s49, 0x7fff
	v_cmp_ne_u32_e64 s[0:1], 1, v3
	v_mov_b32_e32 v9, 0x7fc0
	s_branch .LBB61_4
.LBB61_2:                               ;   in Loop: Header=BB61_4 Depth=1
	v_mov_b32_e32 v10, 0
.LBB61_3:                               ;   in Loop: Header=BB61_4 Depth=1
	v_bfe_u32 v3, v10, 16, 1
	v_add3_u32 v3, v10, v3, s49
	v_cmp_o_f32_e32 vcc, v10, v10
	v_cndmask_b32_sdwa v5, v9, v3, vcc dst_sel:DWORD dst_unused:UNUSED_PAD src0_sel:DWORD src1_sel:WORD_1
	v_lshlrev_b64 v[3:4], 1, v[1:2]
	v_mov_b32_e32 v10, s35
	v_add_co_u32_e32 v3, vcc, s34, v3
	v_addc_co_u32_e32 v4, vcc, v10, v4, vcc
	v_add_co_u32_e32 v1, vcc, s41, v1
	v_addc_co_u32_e32 v2, vcc, 0, v2, vcc
	v_cmp_le_i64_e32 vcc, s[20:21], v[1:2]
	v_add_u32_e32 v0, s41, v0
	s_or_b64 s[36:37], vcc, s[36:37]
	global_store_short v[3:4], v5, off
	s_andn2_b64 exec, exec, s[36:37]
	s_cbranch_execz .LBB61_17
.LBB61_4:                               ; =>This Loop Header: Depth=1
                                        ;     Child Loop BB61_7 Depth 2
                                        ;       Child Loop BB61_10 Depth 3
                                        ;         Child Loop BB61_14 Depth 4
	s_and_b64 vcc, exec, s[0:1]
	s_cbranch_vccnz .LBB61_2
; %bb.5:                                ;   in Loop: Header=BB61_4 Depth=1
	v_sub_u32_e32 v3, 0, v1
	v_max_i32_e32 v3, v1, v3
	v_mul_hi_u32 v4, v3, v6
	v_ashrrev_i32_e32 v10, 31, v1
	v_xor_b32_e32 v10, s42, v10
	s_mov_b32 s50, 0
	v_mul_lo_u32 v5, v4, s8
	v_add_u32_e32 v11, 1, v4
	v_sub_u32_e32 v3, v3, v5
	v_cmp_le_u32_e32 vcc, s8, v3
	v_subrev_u32_e32 v5, s8, v3
	v_cndmask_b32_e32 v4, v4, v11, vcc
	v_cndmask_b32_e32 v3, v3, v5, vcc
	v_add_u32_e32 v5, 1, v4
	v_cmp_le_u32_e32 vcc, s8, v3
	v_cndmask_b32_e32 v3, v4, v5, vcc
	v_xor_b32_e32 v5, v3, v10
	v_sub_u32_e32 v14, v5, v10
	v_sub_u32_e32 v3, 0, v14
	v_max_i32_e32 v3, v14, v3
	v_mul_hi_u32 v4, v3, v7
	v_ashrrev_i32_e32 v12, 31, v14
	v_xor_b32_e32 v12, s43, v12
	v_mul_lo_u32 v11, v4, s33
	v_add_u32_e32 v13, 1, v4
	v_sub_u32_e32 v3, v3, v11
	v_cmp_le_u32_e32 vcc, s33, v3
	v_subrev_u32_e32 v11, s33, v3
	v_cndmask_b32_e32 v4, v4, v13, vcc
	v_cndmask_b32_e32 v3, v3, v11, vcc
	v_add_u32_e32 v11, 1, v4
	v_cmp_le_u32_e32 vcc, s33, v3
	v_cndmask_b32_e32 v3, v4, v11, vcc
	v_xor_b32_e32 v3, v3, v12
	v_sub_u32_e32 v11, v3, v12
	v_sub_u32_e32 v3, 0, v11
	v_max_i32_e32 v3, v11, v3
	v_mul_hi_u32 v4, v3, v8
	v_ashrrev_i32_e32 v13, 31, v11
	v_xor_b32_e32 v13, s44, v13
	v_mul_lo_u32 v12, v4, s40
	v_add_u32_e32 v15, 1, v4
	v_sub_u32_e32 v3, v3, v12
	v_cmp_le_u32_e32 vcc, s40, v3
	v_subrev_u32_e32 v12, s40, v3
	v_cndmask_b32_e32 v4, v4, v15, vcc
	v_cndmask_b32_e32 v3, v3, v12, vcc
	v_add_u32_e32 v12, 1, v4
	v_cmp_le_u32_e32 vcc, s40, v3
	v_cndmask_b32_e32 v3, v4, v12, vcc
	v_xor_b32_e32 v3, v3, v13
	v_sub_u32_e32 v3, v3, v13
	v_mul_lo_u32 v4, v3, s9
	v_mul_lo_u32 v3, v3, s11
	v_sub_u32_e32 v13, v11, v4
	v_mad_u64_u32 v[3:4], s[2:3], v13, s10, v[3:4]
	v_mul_lo_u32 v11, s13, v11
	v_mul_lo_u32 v4, s12, v14
	;; [unrolled: 1-line block ×4, first 2 shown]
	v_add_u32_e32 v14, s17, v14
	v_sub_u32_e32 v15, v0, v4
	v_add3_u32 v3, s17, v5, v3
	v_sub_u32_e32 v3, v3, v11
	v_sub_u32_e32 v3, v3, v10
	v_mul_lo_u32 v12, s14, v3
	v_mov_b32_e32 v10, 0
	s_branch .LBB61_7
.LBB61_6:                               ;   in Loop: Header=BB61_7 Depth=2
	s_add_i32 s50, s50, 1
	v_add_u32_e32 v12, s45, v12
	s_cmp_eq_u32 s50, s10
	v_add_u32_e32 v13, s16, v13
	s_cbranch_scc1 .LBB61_3
.LBB61_7:                               ;   Parent Loop BB61_4 Depth=1
                                        ; =>  This Loop Header: Depth=2
                                        ;       Child Loop BB61_10 Depth 3
                                        ;         Child Loop BB61_14 Depth 4
	s_andn2_b64 vcc, exec, s[26:27]
	s_cbranch_vccnz .LBB61_6
; %bb.8:                                ;   in Loop: Header=BB61_7 Depth=2
	s_mov_b32 s51, 0
	v_mov_b32_e32 v3, v13
	v_mov_b32_e32 v16, v12
	s_branch .LBB61_10
.LBB61_9:                               ;   in Loop: Header=BB61_10 Depth=3
	s_add_i32 s51, s51, 1
	v_subrev_u32_e32 v16, s46, v16
	s_cmp_eq_u32 s51, s23
	v_add_u32_e32 v3, s48, v3
	s_cbranch_scc1 .LBB61_6
.LBB61_10:                              ;   Parent Loop BB61_4 Depth=1
                                        ;     Parent Loop BB61_7 Depth=2
                                        ; =>    This Loop Header: Depth=3
                                        ;         Child Loop BB61_14 Depth 4
	s_andn2_b64 vcc, exec, s[28:29]
	s_cbranch_vccnz .LBB61_9
; %bb.11:                               ;   in Loop: Header=BB61_10 Depth=3
	v_ashrrev_i32_e32 v4, 31, v3
	v_lshlrev_b64 v[4:5], 1, v[3:4]
	v_mov_b32_e32 v17, s25
	v_add_co_u32_e32 v4, vcc, s24, v4
	s_mul_i32 s2, s19, s51
	v_addc_co_u32_e32 v5, vcc, v17, v5, vcc
	v_add_u32_e32 v17, s2, v11
	v_sub_u32_e32 v17, v14, v17
	v_cmp_lt_i32_e32 vcc, -1, v17
	v_cmp_gt_i32_e64 s[2:3], s15, v17
	s_mov_b32 s52, s22
	v_mov_b32_e32 v17, v15
	s_branch .LBB61_14
.LBB61_12:                              ;   in Loop: Header=BB61_14 Depth=4
	s_or_b64 exec, exec, s[6:7]
.LBB61_13:                              ;   in Loop: Header=BB61_14 Depth=4
	s_or_b64 exec, exec, s[38:39]
	s_add_i32 s52, s52, -1
	v_add_co_u32_e64 v4, s[4:5], 2, v4
	v_subrev_u32_e32 v17, s18, v17
	s_cmp_eq_u32 s52, 0
	v_addc_co_u32_e64 v5, s[4:5], 0, v5, s[4:5]
	s_cbranch_scc1 .LBB61_9
.LBB61_14:                              ;   Parent Loop BB61_4 Depth=1
                                        ;     Parent Loop BB61_7 Depth=2
                                        ;       Parent Loop BB61_10 Depth=3
                                        ; =>      This Inner Loop Header: Depth=4
	s_and_saveexec_b64 s[38:39], vcc
	s_cbranch_execz .LBB61_13
; %bb.15:                               ;   in Loop: Header=BB61_14 Depth=4
	v_cmp_lt_i32_e64 s[4:5], -1, v17
	v_cmp_gt_i32_e64 s[6:7], s14, v17
	s_and_b64 s[4:5], s[4:5], s[6:7]
	s_and_b64 s[4:5], s[2:3], s[4:5]
	s_and_saveexec_b64 s[6:7], s[4:5]
	s_cbranch_execz .LBB61_12
; %bb.16:                               ;   in Loop: Header=BB61_14 Depth=4
	v_add_u32_e32 v18, v16, v17
	v_ashrrev_i32_e32 v19, 31, v18
	v_lshlrev_b64 v[18:19], 1, v[18:19]
	v_mov_b32_e32 v20, s31
	v_add_co_u32_e64 v18, s[4:5], s30, v18
	v_addc_co_u32_e64 v19, s[4:5], v20, v19, s[4:5]
	global_load_ushort v18, v[18:19], off
	s_nop 0
	global_load_ushort v19, v[4:5], off
	s_waitcnt vmcnt(1)
	v_lshlrev_b32_e32 v18, 16, v18
	s_waitcnt vmcnt(0)
	v_lshlrev_b32_e32 v19, 16, v19
	v_fmac_f32_e32 v10, v19, v18
	s_branch .LBB61_12
.LBB61_17:
	s_endpgm
	.section	.rodata,"a",@progbits
	.p2align	6, 0x0
	.amdhsa_kernel _ZN2at6native12_GLOBAL__N_132conv_depthwise2d_backward_kernelILi0ELi1EN3c108BFloat16EiEEvN5torch10headeronly6detail27GenericPackedTensorAccessorINS7_14TensorAccessorINS3_8ArrayRefIlEEKT1_Lm3ENS6_16DefaultPtrTraitsEiEENS_6detail16IndexBoundsCheckILm4EiEESD_Lm4ESE_iEENS8_INS9_ISB_SC_Lm3ESE_iEESI_SC_Lm4ESE_iEESJ_T2_iiiiiiiiiiiiiii
		.amdhsa_group_segment_fixed_size 0
		.amdhsa_private_segment_fixed_size 0
		.amdhsa_kernarg_size 440
		.amdhsa_user_sgpr_count 6
		.amdhsa_user_sgpr_private_segment_buffer 1
		.amdhsa_user_sgpr_dispatch_ptr 0
		.amdhsa_user_sgpr_queue_ptr 0
		.amdhsa_user_sgpr_kernarg_segment_ptr 1
		.amdhsa_user_sgpr_dispatch_id 0
		.amdhsa_user_sgpr_flat_scratch_init 0
		.amdhsa_user_sgpr_private_segment_size 0
		.amdhsa_uses_dynamic_stack 0
		.amdhsa_system_sgpr_private_segment_wavefront_offset 0
		.amdhsa_system_sgpr_workgroup_id_x 1
		.amdhsa_system_sgpr_workgroup_id_y 0
		.amdhsa_system_sgpr_workgroup_id_z 0
		.amdhsa_system_sgpr_workgroup_info 0
		.amdhsa_system_vgpr_workitem_id 0
		.amdhsa_next_free_vgpr 21
		.amdhsa_next_free_sgpr 53
		.amdhsa_reserve_vcc 1
		.amdhsa_reserve_flat_scratch 0
		.amdhsa_float_round_mode_32 0
		.amdhsa_float_round_mode_16_64 0
		.amdhsa_float_denorm_mode_32 3
		.amdhsa_float_denorm_mode_16_64 3
		.amdhsa_dx10_clamp 1
		.amdhsa_ieee_mode 1
		.amdhsa_fp16_overflow 0
		.amdhsa_exception_fp_ieee_invalid_op 0
		.amdhsa_exception_fp_denorm_src 0
		.amdhsa_exception_fp_ieee_div_zero 0
		.amdhsa_exception_fp_ieee_overflow 0
		.amdhsa_exception_fp_ieee_underflow 0
		.amdhsa_exception_fp_ieee_inexact 0
		.amdhsa_exception_int_div_zero 0
	.end_amdhsa_kernel
	.section	.text._ZN2at6native12_GLOBAL__N_132conv_depthwise2d_backward_kernelILi0ELi1EN3c108BFloat16EiEEvN5torch10headeronly6detail27GenericPackedTensorAccessorINS7_14TensorAccessorINS3_8ArrayRefIlEEKT1_Lm3ENS6_16DefaultPtrTraitsEiEENS_6detail16IndexBoundsCheckILm4EiEESD_Lm4ESE_iEENS8_INS9_ISB_SC_Lm3ESE_iEESI_SC_Lm4ESE_iEESJ_T2_iiiiiiiiiiiiiii,"axG",@progbits,_ZN2at6native12_GLOBAL__N_132conv_depthwise2d_backward_kernelILi0ELi1EN3c108BFloat16EiEEvN5torch10headeronly6detail27GenericPackedTensorAccessorINS7_14TensorAccessorINS3_8ArrayRefIlEEKT1_Lm3ENS6_16DefaultPtrTraitsEiEENS_6detail16IndexBoundsCheckILm4EiEESD_Lm4ESE_iEENS8_INS9_ISB_SC_Lm3ESE_iEESI_SC_Lm4ESE_iEESJ_T2_iiiiiiiiiiiiiii,comdat
.Lfunc_end61:
	.size	_ZN2at6native12_GLOBAL__N_132conv_depthwise2d_backward_kernelILi0ELi1EN3c108BFloat16EiEEvN5torch10headeronly6detail27GenericPackedTensorAccessorINS7_14TensorAccessorINS3_8ArrayRefIlEEKT1_Lm3ENS6_16DefaultPtrTraitsEiEENS_6detail16IndexBoundsCheckILm4EiEESD_Lm4ESE_iEENS8_INS9_ISB_SC_Lm3ESE_iEESI_SC_Lm4ESE_iEESJ_T2_iiiiiiiiiiiiiii, .Lfunc_end61-_ZN2at6native12_GLOBAL__N_132conv_depthwise2d_backward_kernelILi0ELi1EN3c108BFloat16EiEEvN5torch10headeronly6detail27GenericPackedTensorAccessorINS7_14TensorAccessorINS3_8ArrayRefIlEEKT1_Lm3ENS6_16DefaultPtrTraitsEiEENS_6detail16IndexBoundsCheckILm4EiEESD_Lm4ESE_iEENS8_INS9_ISB_SC_Lm3ESE_iEESI_SC_Lm4ESE_iEESJ_T2_iiiiiiiiiiiiiii
                                        ; -- End function
	.set _ZN2at6native12_GLOBAL__N_132conv_depthwise2d_backward_kernelILi0ELi1EN3c108BFloat16EiEEvN5torch10headeronly6detail27GenericPackedTensorAccessorINS7_14TensorAccessorINS3_8ArrayRefIlEEKT1_Lm3ENS6_16DefaultPtrTraitsEiEENS_6detail16IndexBoundsCheckILm4EiEESD_Lm4ESE_iEENS8_INS9_ISB_SC_Lm3ESE_iEESI_SC_Lm4ESE_iEESJ_T2_iiiiiiiiiiiiiii.num_vgpr, 21
	.set _ZN2at6native12_GLOBAL__N_132conv_depthwise2d_backward_kernelILi0ELi1EN3c108BFloat16EiEEvN5torch10headeronly6detail27GenericPackedTensorAccessorINS7_14TensorAccessorINS3_8ArrayRefIlEEKT1_Lm3ENS6_16DefaultPtrTraitsEiEENS_6detail16IndexBoundsCheckILm4EiEESD_Lm4ESE_iEENS8_INS9_ISB_SC_Lm3ESE_iEESI_SC_Lm4ESE_iEESJ_T2_iiiiiiiiiiiiiii.num_agpr, 0
	.set _ZN2at6native12_GLOBAL__N_132conv_depthwise2d_backward_kernelILi0ELi1EN3c108BFloat16EiEEvN5torch10headeronly6detail27GenericPackedTensorAccessorINS7_14TensorAccessorINS3_8ArrayRefIlEEKT1_Lm3ENS6_16DefaultPtrTraitsEiEENS_6detail16IndexBoundsCheckILm4EiEESD_Lm4ESE_iEENS8_INS9_ISB_SC_Lm3ESE_iEESI_SC_Lm4ESE_iEESJ_T2_iiiiiiiiiiiiiii.numbered_sgpr, 53
	.set _ZN2at6native12_GLOBAL__N_132conv_depthwise2d_backward_kernelILi0ELi1EN3c108BFloat16EiEEvN5torch10headeronly6detail27GenericPackedTensorAccessorINS7_14TensorAccessorINS3_8ArrayRefIlEEKT1_Lm3ENS6_16DefaultPtrTraitsEiEENS_6detail16IndexBoundsCheckILm4EiEESD_Lm4ESE_iEENS8_INS9_ISB_SC_Lm3ESE_iEESI_SC_Lm4ESE_iEESJ_T2_iiiiiiiiiiiiiii.num_named_barrier, 0
	.set _ZN2at6native12_GLOBAL__N_132conv_depthwise2d_backward_kernelILi0ELi1EN3c108BFloat16EiEEvN5torch10headeronly6detail27GenericPackedTensorAccessorINS7_14TensorAccessorINS3_8ArrayRefIlEEKT1_Lm3ENS6_16DefaultPtrTraitsEiEENS_6detail16IndexBoundsCheckILm4EiEESD_Lm4ESE_iEENS8_INS9_ISB_SC_Lm3ESE_iEESI_SC_Lm4ESE_iEESJ_T2_iiiiiiiiiiiiiii.private_seg_size, 0
	.set _ZN2at6native12_GLOBAL__N_132conv_depthwise2d_backward_kernelILi0ELi1EN3c108BFloat16EiEEvN5torch10headeronly6detail27GenericPackedTensorAccessorINS7_14TensorAccessorINS3_8ArrayRefIlEEKT1_Lm3ENS6_16DefaultPtrTraitsEiEENS_6detail16IndexBoundsCheckILm4EiEESD_Lm4ESE_iEENS8_INS9_ISB_SC_Lm3ESE_iEESI_SC_Lm4ESE_iEESJ_T2_iiiiiiiiiiiiiii.uses_vcc, 1
	.set _ZN2at6native12_GLOBAL__N_132conv_depthwise2d_backward_kernelILi0ELi1EN3c108BFloat16EiEEvN5torch10headeronly6detail27GenericPackedTensorAccessorINS7_14TensorAccessorINS3_8ArrayRefIlEEKT1_Lm3ENS6_16DefaultPtrTraitsEiEENS_6detail16IndexBoundsCheckILm4EiEESD_Lm4ESE_iEENS8_INS9_ISB_SC_Lm3ESE_iEESI_SC_Lm4ESE_iEESJ_T2_iiiiiiiiiiiiiii.uses_flat_scratch, 0
	.set _ZN2at6native12_GLOBAL__N_132conv_depthwise2d_backward_kernelILi0ELi1EN3c108BFloat16EiEEvN5torch10headeronly6detail27GenericPackedTensorAccessorINS7_14TensorAccessorINS3_8ArrayRefIlEEKT1_Lm3ENS6_16DefaultPtrTraitsEiEENS_6detail16IndexBoundsCheckILm4EiEESD_Lm4ESE_iEENS8_INS9_ISB_SC_Lm3ESE_iEESI_SC_Lm4ESE_iEESJ_T2_iiiiiiiiiiiiiii.has_dyn_sized_stack, 0
	.set _ZN2at6native12_GLOBAL__N_132conv_depthwise2d_backward_kernelILi0ELi1EN3c108BFloat16EiEEvN5torch10headeronly6detail27GenericPackedTensorAccessorINS7_14TensorAccessorINS3_8ArrayRefIlEEKT1_Lm3ENS6_16DefaultPtrTraitsEiEENS_6detail16IndexBoundsCheckILm4EiEESD_Lm4ESE_iEENS8_INS9_ISB_SC_Lm3ESE_iEESI_SC_Lm4ESE_iEESJ_T2_iiiiiiiiiiiiiii.has_recursion, 0
	.set _ZN2at6native12_GLOBAL__N_132conv_depthwise2d_backward_kernelILi0ELi1EN3c108BFloat16EiEEvN5torch10headeronly6detail27GenericPackedTensorAccessorINS7_14TensorAccessorINS3_8ArrayRefIlEEKT1_Lm3ENS6_16DefaultPtrTraitsEiEENS_6detail16IndexBoundsCheckILm4EiEESD_Lm4ESE_iEENS8_INS9_ISB_SC_Lm3ESE_iEESI_SC_Lm4ESE_iEESJ_T2_iiiiiiiiiiiiiii.has_indirect_call, 0
	.section	.AMDGPU.csdata,"",@progbits
; Kernel info:
; codeLenInByte = 1108
; TotalNumSgprs: 57
; NumVgprs: 21
; ScratchSize: 0
; MemoryBound: 0
; FloatMode: 240
; IeeeMode: 1
; LDSByteSize: 0 bytes/workgroup (compile time only)
; SGPRBlocks: 7
; VGPRBlocks: 5
; NumSGPRsForWavesPerEU: 57
; NumVGPRsForWavesPerEU: 21
; Occupancy: 10
; WaveLimiterHint : 0
; COMPUTE_PGM_RSRC2:SCRATCH_EN: 0
; COMPUTE_PGM_RSRC2:USER_SGPR: 6
; COMPUTE_PGM_RSRC2:TRAP_HANDLER: 0
; COMPUTE_PGM_RSRC2:TGID_X_EN: 1
; COMPUTE_PGM_RSRC2:TGID_Y_EN: 0
; COMPUTE_PGM_RSRC2:TGID_Z_EN: 0
; COMPUTE_PGM_RSRC2:TIDIG_COMP_CNT: 0
	.section	.text._ZN2at6native12_GLOBAL__N_132conv_depthwise2d_backward_kernelILi0ELi2EN3c108BFloat16EiEEvN5torch10headeronly6detail27GenericPackedTensorAccessorINS7_14TensorAccessorINS3_8ArrayRefIlEEKT1_Lm3ENS6_16DefaultPtrTraitsEiEENS_6detail16IndexBoundsCheckILm4EiEESD_Lm4ESE_iEENS8_INS9_ISB_SC_Lm3ESE_iEESI_SC_Lm4ESE_iEESJ_T2_iiiiiiiiiiiiiii,"axG",@progbits,_ZN2at6native12_GLOBAL__N_132conv_depthwise2d_backward_kernelILi0ELi2EN3c108BFloat16EiEEvN5torch10headeronly6detail27GenericPackedTensorAccessorINS7_14TensorAccessorINS3_8ArrayRefIlEEKT1_Lm3ENS6_16DefaultPtrTraitsEiEENS_6detail16IndexBoundsCheckILm4EiEESD_Lm4ESE_iEENS8_INS9_ISB_SC_Lm3ESE_iEESI_SC_Lm4ESE_iEESJ_T2_iiiiiiiiiiiiiii,comdat
	.globl	_ZN2at6native12_GLOBAL__N_132conv_depthwise2d_backward_kernelILi0ELi2EN3c108BFloat16EiEEvN5torch10headeronly6detail27GenericPackedTensorAccessorINS7_14TensorAccessorINS3_8ArrayRefIlEEKT1_Lm3ENS6_16DefaultPtrTraitsEiEENS_6detail16IndexBoundsCheckILm4EiEESD_Lm4ESE_iEENS8_INS9_ISB_SC_Lm3ESE_iEESI_SC_Lm4ESE_iEESJ_T2_iiiiiiiiiiiiiii ; -- Begin function _ZN2at6native12_GLOBAL__N_132conv_depthwise2d_backward_kernelILi0ELi2EN3c108BFloat16EiEEvN5torch10headeronly6detail27GenericPackedTensorAccessorINS7_14TensorAccessorINS3_8ArrayRefIlEEKT1_Lm3ENS6_16DefaultPtrTraitsEiEENS_6detail16IndexBoundsCheckILm4EiEESD_Lm4ESE_iEENS8_INS9_ISB_SC_Lm3ESE_iEESI_SC_Lm4ESE_iEESJ_T2_iiiiiiiiiiiiiii
	.p2align	8
	.type	_ZN2at6native12_GLOBAL__N_132conv_depthwise2d_backward_kernelILi0ELi2EN3c108BFloat16EiEEvN5torch10headeronly6detail27GenericPackedTensorAccessorINS7_14TensorAccessorINS3_8ArrayRefIlEEKT1_Lm3ENS6_16DefaultPtrTraitsEiEENS_6detail16IndexBoundsCheckILm4EiEESD_Lm4ESE_iEENS8_INS9_ISB_SC_Lm3ESE_iEESI_SC_Lm4ESE_iEESJ_T2_iiiiiiiiiiiiiii,@function
_ZN2at6native12_GLOBAL__N_132conv_depthwise2d_backward_kernelILi0ELi2EN3c108BFloat16EiEEvN5torch10headeronly6detail27GenericPackedTensorAccessorINS7_14TensorAccessorINS3_8ArrayRefIlEEKT1_Lm3ENS6_16DefaultPtrTraitsEiEENS_6detail16IndexBoundsCheckILm4EiEESD_Lm4ESE_iEENS8_INS9_ISB_SC_Lm3ESE_iEESI_SC_Lm4ESE_iEESJ_T2_iiiiiiiiiiiiiii: ; @_ZN2at6native12_GLOBAL__N_132conv_depthwise2d_backward_kernelILi0ELi2EN3c108BFloat16EiEEvN5torch10headeronly6detail27GenericPackedTensorAccessorINS7_14TensorAccessorINS3_8ArrayRefIlEEKT1_Lm3ENS6_16DefaultPtrTraitsEiEENS_6detail16IndexBoundsCheckILm4EiEESD_Lm4ESE_iEENS8_INS9_ISB_SC_Lm3ESE_iEESI_SC_Lm4ESE_iEESJ_T2_iiiiiiiiiiiiiii
; %bb.0:
	s_load_dword s2, s[4:5], 0xc4
	s_load_dwordx8 s[12:19], s[4:5], 0x78
	s_add_u32 s0, s4, 0xb8
	s_addc_u32 s1, s5, 0
	v_mov_b32_e32 v1, 0
	s_waitcnt lgkmcnt(0)
	s_and_b32 s2, s2, 0xffff
	v_mov_b32_e32 v2, s6
	v_mad_u64_u32 v[1:2], s[8:9], s2, v2, v[0:1]
	s_ashr_i32 s11, s12, 31
	s_mov_b32 s10, s12
	v_cmp_gt_i64_e32 vcc, s[10:11], v[1:2]
	s_and_saveexec_b64 s[8:9], vcc
	s_cbranch_execz .LBB62_19
; %bb.1:
	s_load_dwordx2 s[24:25], s[4:5], 0x98
	s_load_dwordx2 s[26:27], s[4:5], 0x50
	s_cmp_gt_i32 s14, 0
	s_cselect_b64 s[8:9], -1, 0
	s_load_dwordx2 s[34:35], s[4:5], 0x0
	s_load_dwordx2 s[36:37], s[4:5], 0x28
	s_waitcnt lgkmcnt(0)
	s_cmp_gt_i32 s25, 0
	s_cselect_b64 s[28:29], -1, 0
	s_cmp_gt_i32 s24, 0
	s_cselect_b64 s[30:31], -1, 0
	s_abs_i32 s12, s16
	v_cvt_f32_u32_e32 v3, s12
	s_abs_i32 s33, s17
	v_cvt_f32_u32_e32 v4, s33
	s_abs_i32 s44, s13
	v_rcp_iflag_f32_e32 v3, v3
	v_cvt_f32_u32_e32 v5, s44
	v_rcp_iflag_f32_e32 v4, v4
	s_load_dwordx4 s[20:23], s[4:5], 0xa8
	s_load_dword s3, s[0:1], 0x0
	v_mul_f32_e32 v3, 0x4f7ffffe, v3
	v_rcp_iflag_f32_e32 v5, v5
	v_cvt_u32_f32_e32 v3, v3
	v_mul_f32_e32 v4, 0x4f7ffffe, v4
	s_sub_i32 s0, 0, s12
	v_cvt_u32_f32_e32 v4, v4
	v_mul_f32_e32 v5, 0x4f7ffffe, v5
	v_mul_lo_u32 v6, s0, v3
	v_cvt_u32_f32_e32 v5, v5
	s_sub_i32 s0, 0, s33
	v_mul_lo_u32 v7, s0, v4
	s_sub_i32 s0, 0, s44
	v_mul_hi_u32 v6, v3, v6
	v_mul_lo_u32 v8, s0, v5
	v_mul_hi_u32 v7, v4, v7
	s_mul_i32 s0, s6, s2
	v_add_u32_e32 v6, v3, v6
	v_mul_hi_u32 v3, v5, v8
	s_waitcnt lgkmcnt(0)
	s_add_i32 s0, s0, s20
	s_mul_i32 s20, s25, s24
	s_mul_i32 s45, s3, s2
	v_add_u32_e32 v8, v5, v3
	v_cndmask_b32_e64 v3, 0, 1, s[8:9]
	s_ashr_i32 s46, s16, 31
	s_ashr_i32 s47, s17, 31
	v_add_u32_e32 v7, v4, v7
	s_ashr_i32 s48, s13, 31
	v_add_u32_e32 v0, s0, v0
	s_mul_i32 s49, s20, s14
	s_max_i32 s50, s24, 0
	s_mov_b64 s[38:39], 0
	v_cmp_ne_u32_e64 s[0:1], 1, v3
	s_movk_i32 s51, 0x7fff
	v_mov_b32_e32 v9, 0x7fc0
	s_branch .LBB62_4
.LBB62_2:                               ;   in Loop: Header=BB62_4 Depth=1
	v_mov_b32_e32 v10, 0
.LBB62_3:                               ;   in Loop: Header=BB62_4 Depth=1
	v_bfe_u32 v3, v10, 16, 1
	v_add3_u32 v3, v10, v3, s51
	v_cmp_o_f32_e32 vcc, v10, v10
	v_cndmask_b32_sdwa v5, v9, v3, vcc dst_sel:DWORD dst_unused:UNUSED_PAD src0_sel:DWORD src1_sel:WORD_1
	v_lshlrev_b64 v[3:4], 1, v[1:2]
	v_mov_b32_e32 v10, s37
	v_add_co_u32_e32 v3, vcc, s36, v3
	v_addc_co_u32_e32 v4, vcc, v10, v4, vcc
	v_add_co_u32_e32 v1, vcc, s45, v1
	v_addc_co_u32_e32 v2, vcc, 0, v2, vcc
	v_cmp_le_i64_e32 vcc, s[10:11], v[1:2]
	v_add_u32_e32 v0, s45, v0
	s_or_b64 s[38:39], vcc, s[38:39]
	global_store_short v[3:4], v5, off
	s_andn2_b64 exec, exec, s[38:39]
	s_cbranch_execz .LBB62_19
.LBB62_4:                               ; =>This Loop Header: Depth=1
                                        ;     Child Loop BB62_7 Depth 2
                                        ;       Child Loop BB62_10 Depth 3
                                        ;         Child Loop BB62_15 Depth 4
	s_and_b64 vcc, exec, s[0:1]
	s_cbranch_vccnz .LBB62_2
; %bb.5:                                ;   in Loop: Header=BB62_4 Depth=1
	v_sub_u32_e32 v3, 0, v1
	v_max_i32_e32 v3, v1, v3
	v_mul_hi_u32 v4, v3, v6
	v_ashrrev_i32_e32 v10, 31, v1
	v_xor_b32_e32 v10, s46, v10
	s_mov_b32 s52, 0
	v_mul_lo_u32 v5, v4, s12
	v_add_u32_e32 v11, 1, v4
	v_sub_u32_e32 v3, v3, v5
	v_cmp_le_u32_e32 vcc, s12, v3
	v_subrev_u32_e32 v5, s12, v3
	v_cndmask_b32_e32 v4, v4, v11, vcc
	v_cndmask_b32_e32 v3, v3, v5, vcc
	v_add_u32_e32 v5, 1, v4
	v_cmp_le_u32_e32 vcc, s12, v3
	v_cndmask_b32_e32 v3, v4, v5, vcc
	v_xor_b32_e32 v3, v3, v10
	v_sub_u32_e32 v3, v3, v10
	v_sub_u32_e32 v4, 0, v3
	v_max_i32_e32 v4, v3, v4
	v_mul_hi_u32 v5, v4, v7
	v_ashrrev_i32_e32 v11, 31, v3
	v_xor_b32_e32 v11, s47, v11
	v_mul_lo_u32 v16, s16, v3
	v_mul_lo_u32 v10, v5, s33
	v_add_u32_e32 v12, 1, v5
	v_add_u32_e32 v15, s21, v3
	v_sub_u32_e32 v16, v0, v16
	v_sub_u32_e32 v4, v4, v10
	v_cmp_le_u32_e32 vcc, s33, v4
	v_subrev_u32_e32 v10, s33, v4
	v_cndmask_b32_e32 v5, v5, v12, vcc
	v_cndmask_b32_e32 v4, v4, v10, vcc
	v_add_u32_e32 v10, 1, v5
	v_cmp_le_u32_e32 vcc, s33, v4
	v_cndmask_b32_e32 v4, v5, v10, vcc
	v_xor_b32_e32 v4, v4, v11
	v_sub_u32_e32 v4, v4, v11
	v_sub_u32_e32 v5, 0, v4
	v_max_i32_e32 v5, v4, v5
	v_mul_hi_u32 v10, v5, v8
	v_ashrrev_i32_e32 v12, 31, v4
	v_xor_b32_e32 v12, s48, v12
	v_mul_lo_u32 v11, v10, s44
	v_add_u32_e32 v13, 1, v10
	v_sub_u32_e32 v5, v5, v11
	v_cmp_le_u32_e32 vcc, s44, v5
	v_subrev_u32_e32 v11, s44, v5
	v_cndmask_b32_e32 v10, v10, v13, vcc
	v_cndmask_b32_e32 v5, v5, v11, vcc
	v_add_u32_e32 v11, 1, v10
	v_cmp_le_u32_e32 vcc, s44, v5
	v_cndmask_b32_e32 v5, v10, v11, vcc
	v_xor_b32_e32 v5, v5, v12
	v_sub_u32_e32 v5, v5, v12
	v_mul_lo_u32 v10, v5, s13
	v_mul_lo_u32 v11, s17, v4
	;; [unrolled: 1-line block ×3, first 2 shown]
	v_sub_u32_e32 v4, v4, v10
	v_mul_lo_u32 v12, v4, s14
	v_mul_lo_u32 v14, s49, v4
	v_mov_b32_e32 v10, 0
	s_branch .LBB62_7
.LBB62_6:                               ;   in Loop: Header=BB62_7 Depth=2
	s_add_i32 s52, s52, 1
	s_cmp_eq_u32 s52, s14
	v_add_u32_e32 v14, s20, v14
	s_cbranch_scc1 .LBB62_3
.LBB62_7:                               ;   Parent Loop BB62_4 Depth=1
                                        ; =>  This Loop Header: Depth=2
                                        ;       Child Loop BB62_10 Depth 3
                                        ;         Child Loop BB62_15 Depth 4
	s_andn2_b64 vcc, exec, s[28:29]
	s_cbranch_vccnz .LBB62_6
; %bb.8:                                ;   in Loop: Header=BB62_7 Depth=2
	v_add3_u32 v3, s52, v12, v13
	v_mul_lo_u32 v17, v3, s19
	s_mov_b32 s53, 0
	v_mov_b32_e32 v3, v14
	s_branch .LBB62_10
.LBB62_9:                               ;   in Loop: Header=BB62_10 Depth=3
	s_add_i32 s53, s53, 1
	s_cmp_eq_u32 s53, s25
	v_add_u32_e32 v3, s50, v3
	s_cbranch_scc1 .LBB62_6
.LBB62_10:                              ;   Parent Loop BB62_4 Depth=1
                                        ;     Parent Loop BB62_7 Depth=2
                                        ; =>    This Loop Header: Depth=3
                                        ;         Child Loop BB62_15 Depth 4
	s_andn2_b64 vcc, exec, s[30:31]
	s_cbranch_vccnz .LBB62_9
; %bb.11:                               ;   in Loop: Header=BB62_10 Depth=3
	v_ashrrev_i32_e32 v4, 31, v3
	v_lshlrev_b64 v[4:5], 1, v[3:4]
	v_mov_b32_e32 v18, s27
	v_add_co_u32_e32 v4, vcc, s26, v4
	s_mul_i32 s2, s23, s53
	v_addc_co_u32_e32 v5, vcc, v18, v5, vcc
	v_add_u32_e32 v18, s2, v11
	v_sub_u32_e32 v18, v15, v18
	v_and_b32_e32 v19, 1, v18
	v_cmp_eq_u32_e32 vcc, 0, v19
	v_ashrrev_i32_e32 v19, 1, v18
	v_add_u32_e32 v18, v19, v17
	v_mul_lo_u32 v18, v18, s18
	v_cmp_lt_i32_e64 s[2:3], -1, v19
	v_cmp_gt_i32_e64 s[4:5], s19, v19
	s_mov_b32 s54, s24
	v_mov_b32_e32 v19, v16
	s_branch .LBB62_15
.LBB62_12:                              ;   in Loop: Header=BB62_15 Depth=4
	s_or_b64 exec, exec, s[8:9]
.LBB62_13:                              ;   in Loop: Header=BB62_15 Depth=4
	s_or_b64 exec, exec, s[42:43]
.LBB62_14:                              ;   in Loop: Header=BB62_15 Depth=4
	s_or_b64 exec, exec, s[40:41]
	s_add_i32 s54, s54, -1
	v_add_co_u32_e64 v4, s[6:7], 2, v4
	v_subrev_u32_e32 v19, s22, v19
	s_cmp_eq_u32 s54, 0
	v_addc_co_u32_e64 v5, s[6:7], 0, v5, s[6:7]
	s_cbranch_scc1 .LBB62_9
.LBB62_15:                              ;   Parent Loop BB62_4 Depth=1
                                        ;     Parent Loop BB62_7 Depth=2
                                        ;       Parent Loop BB62_10 Depth=3
                                        ; =>      This Inner Loop Header: Depth=4
	v_and_b32_e32 v20, 1, v19
	v_cmp_eq_u32_e64 s[6:7], 0, v20
	s_and_b64 s[6:7], vcc, s[6:7]
	s_and_saveexec_b64 s[40:41], s[6:7]
	s_cbranch_execz .LBB62_14
; %bb.16:                               ;   in Loop: Header=BB62_15 Depth=4
	s_and_saveexec_b64 s[42:43], s[2:3]
	s_cbranch_execz .LBB62_13
; %bb.17:                               ;   in Loop: Header=BB62_15 Depth=4
	v_ashrrev_i32_e32 v20, 1, v19
	v_cmp_lt_i32_e64 s[6:7], -1, v20
	v_cmp_gt_i32_e64 s[8:9], s18, v20
	s_and_b64 s[6:7], s[6:7], s[8:9]
	s_and_b64 s[6:7], s[4:5], s[6:7]
	s_and_saveexec_b64 s[8:9], s[6:7]
	s_cbranch_execz .LBB62_12
; %bb.18:                               ;   in Loop: Header=BB62_15 Depth=4
	v_add_u32_e32 v20, v20, v18
	v_ashrrev_i32_e32 v21, 31, v20
	v_lshlrev_b64 v[20:21], 1, v[20:21]
	v_mov_b32_e32 v22, s35
	v_add_co_u32_e64 v20, s[6:7], s34, v20
	v_addc_co_u32_e64 v21, s[6:7], v22, v21, s[6:7]
	global_load_ushort v20, v[20:21], off
	s_nop 0
	global_load_ushort v21, v[4:5], off
	s_waitcnt vmcnt(1)
	v_lshlrev_b32_e32 v20, 16, v20
	s_waitcnt vmcnt(0)
	v_lshlrev_b32_e32 v21, 16, v21
	v_fmac_f32_e32 v10, v21, v20
	s_branch .LBB62_12
.LBB62_19:
	s_endpgm
	.section	.rodata,"a",@progbits
	.p2align	6, 0x0
	.amdhsa_kernel _ZN2at6native12_GLOBAL__N_132conv_depthwise2d_backward_kernelILi0ELi2EN3c108BFloat16EiEEvN5torch10headeronly6detail27GenericPackedTensorAccessorINS7_14TensorAccessorINS3_8ArrayRefIlEEKT1_Lm3ENS6_16DefaultPtrTraitsEiEENS_6detail16IndexBoundsCheckILm4EiEESD_Lm4ESE_iEENS8_INS9_ISB_SC_Lm3ESE_iEESI_SC_Lm4ESE_iEESJ_T2_iiiiiiiiiiiiiii
		.amdhsa_group_segment_fixed_size 0
		.amdhsa_private_segment_fixed_size 0
		.amdhsa_kernarg_size 440
		.amdhsa_user_sgpr_count 6
		.amdhsa_user_sgpr_private_segment_buffer 1
		.amdhsa_user_sgpr_dispatch_ptr 0
		.amdhsa_user_sgpr_queue_ptr 0
		.amdhsa_user_sgpr_kernarg_segment_ptr 1
		.amdhsa_user_sgpr_dispatch_id 0
		.amdhsa_user_sgpr_flat_scratch_init 0
		.amdhsa_user_sgpr_private_segment_size 0
		.amdhsa_uses_dynamic_stack 0
		.amdhsa_system_sgpr_private_segment_wavefront_offset 0
		.amdhsa_system_sgpr_workgroup_id_x 1
		.amdhsa_system_sgpr_workgroup_id_y 0
		.amdhsa_system_sgpr_workgroup_id_z 0
		.amdhsa_system_sgpr_workgroup_info 0
		.amdhsa_system_vgpr_workitem_id 0
		.amdhsa_next_free_vgpr 23
		.amdhsa_next_free_sgpr 55
		.amdhsa_reserve_vcc 1
		.amdhsa_reserve_flat_scratch 0
		.amdhsa_float_round_mode_32 0
		.amdhsa_float_round_mode_16_64 0
		.amdhsa_float_denorm_mode_32 3
		.amdhsa_float_denorm_mode_16_64 3
		.amdhsa_dx10_clamp 1
		.amdhsa_ieee_mode 1
		.amdhsa_fp16_overflow 0
		.amdhsa_exception_fp_ieee_invalid_op 0
		.amdhsa_exception_fp_denorm_src 0
		.amdhsa_exception_fp_ieee_div_zero 0
		.amdhsa_exception_fp_ieee_overflow 0
		.amdhsa_exception_fp_ieee_underflow 0
		.amdhsa_exception_fp_ieee_inexact 0
		.amdhsa_exception_int_div_zero 0
	.end_amdhsa_kernel
	.section	.text._ZN2at6native12_GLOBAL__N_132conv_depthwise2d_backward_kernelILi0ELi2EN3c108BFloat16EiEEvN5torch10headeronly6detail27GenericPackedTensorAccessorINS7_14TensorAccessorINS3_8ArrayRefIlEEKT1_Lm3ENS6_16DefaultPtrTraitsEiEENS_6detail16IndexBoundsCheckILm4EiEESD_Lm4ESE_iEENS8_INS9_ISB_SC_Lm3ESE_iEESI_SC_Lm4ESE_iEESJ_T2_iiiiiiiiiiiiiii,"axG",@progbits,_ZN2at6native12_GLOBAL__N_132conv_depthwise2d_backward_kernelILi0ELi2EN3c108BFloat16EiEEvN5torch10headeronly6detail27GenericPackedTensorAccessorINS7_14TensorAccessorINS3_8ArrayRefIlEEKT1_Lm3ENS6_16DefaultPtrTraitsEiEENS_6detail16IndexBoundsCheckILm4EiEESD_Lm4ESE_iEENS8_INS9_ISB_SC_Lm3ESE_iEESI_SC_Lm4ESE_iEESJ_T2_iiiiiiiiiiiiiii,comdat
.Lfunc_end62:
	.size	_ZN2at6native12_GLOBAL__N_132conv_depthwise2d_backward_kernelILi0ELi2EN3c108BFloat16EiEEvN5torch10headeronly6detail27GenericPackedTensorAccessorINS7_14TensorAccessorINS3_8ArrayRefIlEEKT1_Lm3ENS6_16DefaultPtrTraitsEiEENS_6detail16IndexBoundsCheckILm4EiEESD_Lm4ESE_iEENS8_INS9_ISB_SC_Lm3ESE_iEESI_SC_Lm4ESE_iEESJ_T2_iiiiiiiiiiiiiii, .Lfunc_end62-_ZN2at6native12_GLOBAL__N_132conv_depthwise2d_backward_kernelILi0ELi2EN3c108BFloat16EiEEvN5torch10headeronly6detail27GenericPackedTensorAccessorINS7_14TensorAccessorINS3_8ArrayRefIlEEKT1_Lm3ENS6_16DefaultPtrTraitsEiEENS_6detail16IndexBoundsCheckILm4EiEESD_Lm4ESE_iEENS8_INS9_ISB_SC_Lm3ESE_iEESI_SC_Lm4ESE_iEESJ_T2_iiiiiiiiiiiiiii
                                        ; -- End function
	.set _ZN2at6native12_GLOBAL__N_132conv_depthwise2d_backward_kernelILi0ELi2EN3c108BFloat16EiEEvN5torch10headeronly6detail27GenericPackedTensorAccessorINS7_14TensorAccessorINS3_8ArrayRefIlEEKT1_Lm3ENS6_16DefaultPtrTraitsEiEENS_6detail16IndexBoundsCheckILm4EiEESD_Lm4ESE_iEENS8_INS9_ISB_SC_Lm3ESE_iEESI_SC_Lm4ESE_iEESJ_T2_iiiiiiiiiiiiiii.num_vgpr, 23
	.set _ZN2at6native12_GLOBAL__N_132conv_depthwise2d_backward_kernelILi0ELi2EN3c108BFloat16EiEEvN5torch10headeronly6detail27GenericPackedTensorAccessorINS7_14TensorAccessorINS3_8ArrayRefIlEEKT1_Lm3ENS6_16DefaultPtrTraitsEiEENS_6detail16IndexBoundsCheckILm4EiEESD_Lm4ESE_iEENS8_INS9_ISB_SC_Lm3ESE_iEESI_SC_Lm4ESE_iEESJ_T2_iiiiiiiiiiiiiii.num_agpr, 0
	.set _ZN2at6native12_GLOBAL__N_132conv_depthwise2d_backward_kernelILi0ELi2EN3c108BFloat16EiEEvN5torch10headeronly6detail27GenericPackedTensorAccessorINS7_14TensorAccessorINS3_8ArrayRefIlEEKT1_Lm3ENS6_16DefaultPtrTraitsEiEENS_6detail16IndexBoundsCheckILm4EiEESD_Lm4ESE_iEENS8_INS9_ISB_SC_Lm3ESE_iEESI_SC_Lm4ESE_iEESJ_T2_iiiiiiiiiiiiiii.numbered_sgpr, 55
	.set _ZN2at6native12_GLOBAL__N_132conv_depthwise2d_backward_kernelILi0ELi2EN3c108BFloat16EiEEvN5torch10headeronly6detail27GenericPackedTensorAccessorINS7_14TensorAccessorINS3_8ArrayRefIlEEKT1_Lm3ENS6_16DefaultPtrTraitsEiEENS_6detail16IndexBoundsCheckILm4EiEESD_Lm4ESE_iEENS8_INS9_ISB_SC_Lm3ESE_iEESI_SC_Lm4ESE_iEESJ_T2_iiiiiiiiiiiiiii.num_named_barrier, 0
	.set _ZN2at6native12_GLOBAL__N_132conv_depthwise2d_backward_kernelILi0ELi2EN3c108BFloat16EiEEvN5torch10headeronly6detail27GenericPackedTensorAccessorINS7_14TensorAccessorINS3_8ArrayRefIlEEKT1_Lm3ENS6_16DefaultPtrTraitsEiEENS_6detail16IndexBoundsCheckILm4EiEESD_Lm4ESE_iEENS8_INS9_ISB_SC_Lm3ESE_iEESI_SC_Lm4ESE_iEESJ_T2_iiiiiiiiiiiiiii.private_seg_size, 0
	.set _ZN2at6native12_GLOBAL__N_132conv_depthwise2d_backward_kernelILi0ELi2EN3c108BFloat16EiEEvN5torch10headeronly6detail27GenericPackedTensorAccessorINS7_14TensorAccessorINS3_8ArrayRefIlEEKT1_Lm3ENS6_16DefaultPtrTraitsEiEENS_6detail16IndexBoundsCheckILm4EiEESD_Lm4ESE_iEENS8_INS9_ISB_SC_Lm3ESE_iEESI_SC_Lm4ESE_iEESJ_T2_iiiiiiiiiiiiiii.uses_vcc, 1
	.set _ZN2at6native12_GLOBAL__N_132conv_depthwise2d_backward_kernelILi0ELi2EN3c108BFloat16EiEEvN5torch10headeronly6detail27GenericPackedTensorAccessorINS7_14TensorAccessorINS3_8ArrayRefIlEEKT1_Lm3ENS6_16DefaultPtrTraitsEiEENS_6detail16IndexBoundsCheckILm4EiEESD_Lm4ESE_iEENS8_INS9_ISB_SC_Lm3ESE_iEESI_SC_Lm4ESE_iEESJ_T2_iiiiiiiiiiiiiii.uses_flat_scratch, 0
	.set _ZN2at6native12_GLOBAL__N_132conv_depthwise2d_backward_kernelILi0ELi2EN3c108BFloat16EiEEvN5torch10headeronly6detail27GenericPackedTensorAccessorINS7_14TensorAccessorINS3_8ArrayRefIlEEKT1_Lm3ENS6_16DefaultPtrTraitsEiEENS_6detail16IndexBoundsCheckILm4EiEESD_Lm4ESE_iEENS8_INS9_ISB_SC_Lm3ESE_iEESI_SC_Lm4ESE_iEESJ_T2_iiiiiiiiiiiiiii.has_dyn_sized_stack, 0
	.set _ZN2at6native12_GLOBAL__N_132conv_depthwise2d_backward_kernelILi0ELi2EN3c108BFloat16EiEEvN5torch10headeronly6detail27GenericPackedTensorAccessorINS7_14TensorAccessorINS3_8ArrayRefIlEEKT1_Lm3ENS6_16DefaultPtrTraitsEiEENS_6detail16IndexBoundsCheckILm4EiEESD_Lm4ESE_iEENS8_INS9_ISB_SC_Lm3ESE_iEESI_SC_Lm4ESE_iEESJ_T2_iiiiiiiiiiiiiii.has_recursion, 0
	.set _ZN2at6native12_GLOBAL__N_132conv_depthwise2d_backward_kernelILi0ELi2EN3c108BFloat16EiEEvN5torch10headeronly6detail27GenericPackedTensorAccessorINS7_14TensorAccessorINS3_8ArrayRefIlEEKT1_Lm3ENS6_16DefaultPtrTraitsEiEENS_6detail16IndexBoundsCheckILm4EiEESD_Lm4ESE_iEENS8_INS9_ISB_SC_Lm3ESE_iEESI_SC_Lm4ESE_iEESJ_T2_iiiiiiiiiiiiiii.has_indirect_call, 0
	.section	.AMDGPU.csdata,"",@progbits
; Kernel info:
; codeLenInByte = 1132
; TotalNumSgprs: 59
; NumVgprs: 23
; ScratchSize: 0
; MemoryBound: 0
; FloatMode: 240
; IeeeMode: 1
; LDSByteSize: 0 bytes/workgroup (compile time only)
; SGPRBlocks: 7
; VGPRBlocks: 5
; NumSGPRsForWavesPerEU: 59
; NumVGPRsForWavesPerEU: 23
; Occupancy: 10
; WaveLimiterHint : 0
; COMPUTE_PGM_RSRC2:SCRATCH_EN: 0
; COMPUTE_PGM_RSRC2:USER_SGPR: 6
; COMPUTE_PGM_RSRC2:TRAP_HANDLER: 0
; COMPUTE_PGM_RSRC2:TGID_X_EN: 1
; COMPUTE_PGM_RSRC2:TGID_Y_EN: 0
; COMPUTE_PGM_RSRC2:TGID_Z_EN: 0
; COMPUTE_PGM_RSRC2:TIDIG_COMP_CNT: 0
	.section	.text._ZN2at6native12_GLOBAL__N_132conv_depthwise2d_backward_kernelILi0ELi0EN3c108BFloat16EiEEvN5torch10headeronly6detail27GenericPackedTensorAccessorINS7_14TensorAccessorINS3_8ArrayRefIlEEKT1_Lm3ENS6_16DefaultPtrTraitsEiEENS_6detail16IndexBoundsCheckILm4EiEESD_Lm4ESE_iEENS8_INS9_ISB_SC_Lm3ESE_iEESI_SC_Lm4ESE_iEESJ_T2_iiiiiiiiiiiiiii,"axG",@progbits,_ZN2at6native12_GLOBAL__N_132conv_depthwise2d_backward_kernelILi0ELi0EN3c108BFloat16EiEEvN5torch10headeronly6detail27GenericPackedTensorAccessorINS7_14TensorAccessorINS3_8ArrayRefIlEEKT1_Lm3ENS6_16DefaultPtrTraitsEiEENS_6detail16IndexBoundsCheckILm4EiEESD_Lm4ESE_iEENS8_INS9_ISB_SC_Lm3ESE_iEESI_SC_Lm4ESE_iEESJ_T2_iiiiiiiiiiiiiii,comdat
	.globl	_ZN2at6native12_GLOBAL__N_132conv_depthwise2d_backward_kernelILi0ELi0EN3c108BFloat16EiEEvN5torch10headeronly6detail27GenericPackedTensorAccessorINS7_14TensorAccessorINS3_8ArrayRefIlEEKT1_Lm3ENS6_16DefaultPtrTraitsEiEENS_6detail16IndexBoundsCheckILm4EiEESD_Lm4ESE_iEENS8_INS9_ISB_SC_Lm3ESE_iEESI_SC_Lm4ESE_iEESJ_T2_iiiiiiiiiiiiiii ; -- Begin function _ZN2at6native12_GLOBAL__N_132conv_depthwise2d_backward_kernelILi0ELi0EN3c108BFloat16EiEEvN5torch10headeronly6detail27GenericPackedTensorAccessorINS7_14TensorAccessorINS3_8ArrayRefIlEEKT1_Lm3ENS6_16DefaultPtrTraitsEiEENS_6detail16IndexBoundsCheckILm4EiEESD_Lm4ESE_iEENS8_INS9_ISB_SC_Lm3ESE_iEESI_SC_Lm4ESE_iEESJ_T2_iiiiiiiiiiiiiii
	.p2align	8
	.type	_ZN2at6native12_GLOBAL__N_132conv_depthwise2d_backward_kernelILi0ELi0EN3c108BFloat16EiEEvN5torch10headeronly6detail27GenericPackedTensorAccessorINS7_14TensorAccessorINS3_8ArrayRefIlEEKT1_Lm3ENS6_16DefaultPtrTraitsEiEENS_6detail16IndexBoundsCheckILm4EiEESD_Lm4ESE_iEENS8_INS9_ISB_SC_Lm3ESE_iEESI_SC_Lm4ESE_iEESJ_T2_iiiiiiiiiiiiiii,@function
_ZN2at6native12_GLOBAL__N_132conv_depthwise2d_backward_kernelILi0ELi0EN3c108BFloat16EiEEvN5torch10headeronly6detail27GenericPackedTensorAccessorINS7_14TensorAccessorINS3_8ArrayRefIlEEKT1_Lm3ENS6_16DefaultPtrTraitsEiEENS_6detail16IndexBoundsCheckILm4EiEESD_Lm4ESE_iEENS8_INS9_ISB_SC_Lm3ESE_iEESI_SC_Lm4ESE_iEESJ_T2_iiiiiiiiiiiiiii: ; @_ZN2at6native12_GLOBAL__N_132conv_depthwise2d_backward_kernelILi0ELi0EN3c108BFloat16EiEEvN5torch10headeronly6detail27GenericPackedTensorAccessorINS7_14TensorAccessorINS3_8ArrayRefIlEEKT1_Lm3ENS6_16DefaultPtrTraitsEiEENS_6detail16IndexBoundsCheckILm4EiEESD_Lm4ESE_iEENS8_INS9_ISB_SC_Lm3ESE_iEESI_SC_Lm4ESE_iEESJ_T2_iiiiiiiiiiiiiii
; %bb.0:
	s_load_dword s2, s[4:5], 0xc4
	s_load_dwordx16 s[12:27], s[4:5], 0x78
	s_add_u32 s0, s4, 0xb8
	s_addc_u32 s1, s5, 0
	v_mov_b32_e32 v1, 0
	s_waitcnt lgkmcnt(0)
	s_and_b32 s2, s2, 0xffff
	v_mov_b32_e32 v2, s6
	v_mad_u64_u32 v[1:2], s[8:9], s2, v2, v[0:1]
	s_ashr_i32 s11, s12, 31
	s_mov_b32 s10, s12
	v_cmp_gt_i64_e32 vcc, s[10:11], v[1:2]
	s_and_saveexec_b64 s[8:9], vcc
	s_cbranch_execz .LBB63_19
; %bb.1:
	s_cmp_gt_i32 s14, 0
	s_load_dword s3, s[0:1], 0x0
	s_cselect_b64 s[0:1], -1, 0
	s_cmp_gt_i32 s21, 0
	s_cselect_b64 s[28:29], -1, 0
	s_cmp_gt_i32 s20, 0
	s_cselect_b64 s[30:31], -1, 0
	s_abs_i32 s12, s16
	v_cvt_f32_u32_e32 v3, s12
	s_abs_i32 s33, s17
	v_cvt_f32_u32_e32 v4, s33
	s_waitcnt lgkmcnt(0)
	s_mul_i32 s46, s3, s2
	v_rcp_iflag_f32_e32 v3, v3
	s_sub_i32 s3, 0, s12
	v_rcp_iflag_f32_e32 v4, v4
	s_abs_i32 s48, s13
	v_mul_f32_e32 v3, 0x4f7ffffe, v3
	v_cvt_u32_f32_e32 v3, v3
	v_mul_f32_e32 v4, 0x4f7ffffe, v4
	v_cvt_u32_f32_e32 v4, v4
	v_cvt_f32_u32_e32 v6, s48
	v_mul_lo_u32 v5, s3, v3
	s_sub_i32 s3, 0, s33
	v_mul_lo_u32 v7, s3, v4
	v_rcp_iflag_f32_e32 v8, v6
	v_mul_hi_u32 v5, v3, v5
	s_abs_i32 s50, s23
	s_abs_i32 s51, s22
	s_sub_i32 s3, 0, s48
	v_add_u32_e32 v6, v3, v5
	v_mul_hi_u32 v3, v4, v7
	v_mul_f32_e32 v5, 0x4f7ffffe, v8
	v_cvt_f32_u32_e32 v7, s50
	v_cvt_u32_f32_e32 v5, v5
	v_cvt_f32_u32_e32 v8, s51
	s_load_dwordx2 s[34:35], s[4:5], 0x0
	s_load_dwordx2 s[36:37], s[4:5], 0x28
	s_load_dwordx2 s[38:39], s[4:5], 0x50
	v_rcp_iflag_f32_e32 v10, v7
	v_mul_lo_u32 v9, s3, v5
	v_add_u32_e32 v7, v4, v3
	v_rcp_iflag_f32_e32 v3, v8
	v_mul_f32_e32 v8, 0x4f7ffffe, v10
	v_mul_hi_u32 v4, v5, v9
	v_cvt_u32_f32_e32 v9, v8
	v_mul_f32_e32 v3, 0x4f7ffffe, v3
	v_cvt_u32_f32_e32 v3, v3
	s_sub_i32 s3, 0, s50
	v_mul_lo_u32 v8, s3, v9
	s_sub_i32 s3, 0, s51
	v_mul_lo_u32 v10, s3, v3
	s_mul_i32 s2, s6, s2
	v_mul_hi_u32 v11, v9, v8
	v_add_u32_e32 v8, v5, v4
	v_mul_hi_u32 v4, v3, v10
	s_add_i32 s2, s2, s24
	s_mul_i32 s24, s21, s20
	s_ashr_i32 s47, s16, 31
	v_add_u32_e32 v10, v3, v4
	v_cndmask_b32_e64 v3, 0, 1, s[0:1]
	s_ashr_i32 s49, s17, 31
	s_ashr_i32 s52, s13, 31
	;; [unrolled: 1-line block ×3, first 2 shown]
	v_add_u32_e32 v9, v9, v11
	s_ashr_i32 s54, s22, 31
	v_add_u32_e32 v0, s2, v0
	s_mul_i32 s55, s24, s14
	s_max_i32 s56, s20, 0
	s_mov_b64 s[40:41], 0
	v_cmp_ne_u32_e64 s[0:1], 1, v3
	s_movk_i32 s57, 0x7fff
	v_mov_b32_e32 v11, 0x7fc0
	s_branch .LBB63_4
.LBB63_2:                               ;   in Loop: Header=BB63_4 Depth=1
	v_mov_b32_e32 v12, 0
.LBB63_3:                               ;   in Loop: Header=BB63_4 Depth=1
	v_bfe_u32 v3, v12, 16, 1
	v_add3_u32 v3, v12, v3, s57
	v_cmp_o_f32_e32 vcc, v12, v12
	v_cndmask_b32_sdwa v5, v11, v3, vcc dst_sel:DWORD dst_unused:UNUSED_PAD src0_sel:DWORD src1_sel:WORD_1
	v_lshlrev_b64 v[3:4], 1, v[1:2]
	s_waitcnt lgkmcnt(0)
	v_mov_b32_e32 v12, s37
	v_add_co_u32_e32 v3, vcc, s36, v3
	v_addc_co_u32_e32 v4, vcc, v12, v4, vcc
	v_add_co_u32_e32 v1, vcc, s46, v1
	v_addc_co_u32_e32 v2, vcc, 0, v2, vcc
	v_cmp_le_i64_e32 vcc, s[10:11], v[1:2]
	v_add_u32_e32 v0, s46, v0
	s_or_b64 s[40:41], vcc, s[40:41]
	global_store_short v[3:4], v5, off
	s_andn2_b64 exec, exec, s[40:41]
	s_cbranch_execz .LBB63_19
.LBB63_4:                               ; =>This Loop Header: Depth=1
                                        ;     Child Loop BB63_7 Depth 2
                                        ;       Child Loop BB63_10 Depth 3
                                        ;         Child Loop BB63_15 Depth 4
	s_and_b64 vcc, exec, s[0:1]
	s_cbranch_vccnz .LBB63_2
; %bb.5:                                ;   in Loop: Header=BB63_4 Depth=1
	v_sub_u32_e32 v3, 0, v1
	v_max_i32_e32 v3, v1, v3
	v_mul_hi_u32 v4, v3, v6
	v_ashrrev_i32_e32 v12, 31, v1
	v_xor_b32_e32 v12, s47, v12
	s_mov_b32 s58, 0
	v_mul_lo_u32 v5, v4, s12
	v_add_u32_e32 v13, 1, v4
	v_sub_u32_e32 v3, v3, v5
	v_cmp_le_u32_e32 vcc, s12, v3
	v_subrev_u32_e32 v5, s12, v3
	v_cndmask_b32_e32 v4, v4, v13, vcc
	v_cndmask_b32_e32 v3, v3, v5, vcc
	v_add_u32_e32 v5, 1, v4
	v_cmp_le_u32_e32 vcc, s12, v3
	v_cndmask_b32_e32 v3, v4, v5, vcc
	v_xor_b32_e32 v3, v3, v12
	v_sub_u32_e32 v3, v3, v12
	v_sub_u32_e32 v4, 0, v3
	v_max_i32_e32 v4, v3, v4
	v_mul_hi_u32 v5, v4, v7
	v_ashrrev_i32_e32 v13, 31, v3
	v_xor_b32_e32 v13, s49, v13
	v_mul_lo_u32 v18, s16, v3
	v_mul_lo_u32 v12, v5, s33
	v_add_u32_e32 v14, 1, v5
	v_add_u32_e32 v17, s25, v3
	v_sub_u32_e32 v18, v0, v18
	v_sub_u32_e32 v4, v4, v12
	v_cmp_le_u32_e32 vcc, s33, v4
	v_subrev_u32_e32 v12, s33, v4
	v_cndmask_b32_e32 v5, v5, v14, vcc
	v_cndmask_b32_e32 v4, v4, v12, vcc
	v_add_u32_e32 v12, 1, v5
	v_cmp_le_u32_e32 vcc, s33, v4
	v_cndmask_b32_e32 v4, v5, v12, vcc
	v_xor_b32_e32 v4, v4, v13
	v_sub_u32_e32 v4, v4, v13
	v_sub_u32_e32 v5, 0, v4
	v_max_i32_e32 v5, v4, v5
	v_mul_hi_u32 v12, v5, v8
	v_ashrrev_i32_e32 v14, 31, v4
	v_xor_b32_e32 v14, s52, v14
	v_mul_lo_u32 v13, v12, s48
	v_add_u32_e32 v15, 1, v12
	v_sub_u32_e32 v5, v5, v13
	v_cmp_le_u32_e32 vcc, s48, v5
	v_subrev_u32_e32 v13, s48, v5
	v_cndmask_b32_e32 v12, v12, v15, vcc
	v_cndmask_b32_e32 v5, v5, v13, vcc
	v_add_u32_e32 v13, 1, v12
	v_cmp_le_u32_e32 vcc, s48, v5
	v_cndmask_b32_e32 v5, v12, v13, vcc
	v_xor_b32_e32 v5, v5, v14
	v_sub_u32_e32 v5, v5, v14
	v_mul_lo_u32 v12, v5, s13
	v_mul_lo_u32 v13, s17, v4
	;; [unrolled: 1-line block ×3, first 2 shown]
	v_sub_u32_e32 v4, v4, v12
	v_mul_lo_u32 v14, v4, s14
	v_mul_lo_u32 v16, s55, v4
	v_mov_b32_e32 v12, 0
	s_branch .LBB63_7
.LBB63_6:                               ;   in Loop: Header=BB63_7 Depth=2
	s_add_i32 s58, s58, 1
	s_cmp_eq_u32 s58, s14
	v_add_u32_e32 v16, s24, v16
	s_cbranch_scc1 .LBB63_3
.LBB63_7:                               ;   Parent Loop BB63_4 Depth=1
                                        ; =>  This Loop Header: Depth=2
                                        ;       Child Loop BB63_10 Depth 3
                                        ;         Child Loop BB63_15 Depth 4
	s_andn2_b64 vcc, exec, s[28:29]
	s_cbranch_vccnz .LBB63_6
; %bb.8:                                ;   in Loop: Header=BB63_7 Depth=2
	v_add3_u32 v3, s58, v14, v15
	v_mul_lo_u32 v19, v3, s19
	s_mov_b32 s59, 0
	v_mov_b32_e32 v3, v16
	s_branch .LBB63_10
.LBB63_9:                               ;   in Loop: Header=BB63_10 Depth=3
	s_add_i32 s59, s59, 1
	s_cmp_eq_u32 s59, s21
	v_add_u32_e32 v3, s56, v3
	s_cbranch_scc1 .LBB63_6
.LBB63_10:                              ;   Parent Loop BB63_4 Depth=1
                                        ;     Parent Loop BB63_7 Depth=2
                                        ; =>    This Loop Header: Depth=3
                                        ;         Child Loop BB63_15 Depth 4
	s_andn2_b64 vcc, exec, s[30:31]
	s_cbranch_vccnz .LBB63_9
; %bb.11:                               ;   in Loop: Header=BB63_10 Depth=3
	s_mul_i32 s2, s27, s59
	v_add_u32_e32 v4, s2, v13
	v_sub_u32_e32 v20, v17, v4
	v_sub_u32_e32 v4, 0, v20
	v_max_i32_e32 v21, v20, v4
	v_mul_hi_u32 v22, v21, v9
	v_ashrrev_i32_e32 v25, 31, v20
	v_xor_b32_e32 v25, s53, v25
	v_ashrrev_i32_e32 v4, 31, v3
	v_mul_lo_u32 v24, v22, s50
	v_add_u32_e32 v26, 1, v22
	v_lshlrev_b64 v[4:5], 1, v[3:4]
	s_waitcnt lgkmcnt(0)
	v_mov_b32_e32 v23, s39
	v_sub_u32_e32 v21, v21, v24
	v_cmp_le_u32_e32 vcc, s50, v21
	v_subrev_u32_e32 v24, s50, v21
	v_cndmask_b32_e32 v22, v22, v26, vcc
	v_cndmask_b32_e32 v21, v21, v24, vcc
	v_add_u32_e32 v24, 1, v22
	v_cmp_le_u32_e32 vcc, s50, v21
	v_cndmask_b32_e32 v21, v22, v24, vcc
	v_xor_b32_e32 v21, v21, v25
	v_sub_u32_e32 v21, v21, v25
	v_mul_lo_u32 v22, v21, s23
	v_add_co_u32_e32 v4, vcc, s38, v4
	v_addc_co_u32_e32 v5, vcc, v23, v5, vcc
	v_sub_u32_e32 v20, v20, v22
	v_cmp_eq_u32_e32 vcc, 0, v20
	v_add_u32_e32 v20, v21, v19
	v_mul_lo_u32 v20, v20, s18
	v_cmp_lt_i32_e64 s[2:3], -1, v21
	v_cmp_gt_i32_e64 s[4:5], s19, v21
	s_mov_b32 s60, s20
	v_mov_b32_e32 v21, v18
	s_branch .LBB63_15
.LBB63_12:                              ;   in Loop: Header=BB63_15 Depth=4
	s_or_b64 exec, exec, s[8:9]
.LBB63_13:                              ;   in Loop: Header=BB63_15 Depth=4
	s_or_b64 exec, exec, s[44:45]
.LBB63_14:                              ;   in Loop: Header=BB63_15 Depth=4
	s_or_b64 exec, exec, s[42:43]
	s_add_i32 s60, s60, -1
	v_add_co_u32_e64 v4, s[6:7], 2, v4
	v_subrev_u32_e32 v21, s26, v21
	s_cmp_eq_u32 s60, 0
	v_addc_co_u32_e64 v5, s[6:7], 0, v5, s[6:7]
	s_cbranch_scc1 .LBB63_9
.LBB63_15:                              ;   Parent Loop BB63_4 Depth=1
                                        ;     Parent Loop BB63_7 Depth=2
                                        ;       Parent Loop BB63_10 Depth=3
                                        ; =>      This Inner Loop Header: Depth=4
	s_and_saveexec_b64 s[42:43], vcc
	s_cbranch_execz .LBB63_14
; %bb.16:                               ;   in Loop: Header=BB63_15 Depth=4
	v_sub_u32_e32 v22, 0, v21
	v_max_i32_e32 v22, v21, v22
	v_mul_hi_u32 v23, v22, v10
	v_ashrrev_i32_e32 v25, 31, v21
	v_xor_b32_e32 v25, s54, v25
	v_mul_lo_u32 v24, v23, s51
	v_add_u32_e32 v26, 1, v23
	v_sub_u32_e32 v22, v22, v24
	v_cmp_le_u32_e64 s[6:7], s51, v22
	v_subrev_u32_e32 v24, s51, v22
	v_cndmask_b32_e64 v23, v23, v26, s[6:7]
	v_cndmask_b32_e64 v22, v22, v24, s[6:7]
	v_add_u32_e32 v24, 1, v23
	v_cmp_le_u32_e64 s[6:7], s51, v22
	v_cndmask_b32_e64 v22, v23, v24, s[6:7]
	v_xor_b32_e32 v22, v22, v25
	v_sub_u32_e32 v22, v22, v25
	v_mul_lo_u32 v23, v22, s22
	v_sub_u32_e32 v23, v21, v23
	v_cmp_eq_u32_e64 s[6:7], 0, v23
	s_and_b64 s[6:7], s[6:7], s[2:3]
	s_and_saveexec_b64 s[44:45], s[6:7]
	s_cbranch_execz .LBB63_13
; %bb.17:                               ;   in Loop: Header=BB63_15 Depth=4
	v_cmp_lt_i32_e64 s[6:7], -1, v22
	v_cmp_gt_i32_e64 s[8:9], s18, v22
	s_and_b64 s[6:7], s[6:7], s[8:9]
	s_and_b64 s[6:7], s[4:5], s[6:7]
	s_and_saveexec_b64 s[8:9], s[6:7]
	s_cbranch_execz .LBB63_12
; %bb.18:                               ;   in Loop: Header=BB63_15 Depth=4
	v_add_u32_e32 v22, v20, v22
	v_ashrrev_i32_e32 v23, 31, v22
	v_lshlrev_b64 v[22:23], 1, v[22:23]
	v_mov_b32_e32 v24, s35
	v_add_co_u32_e64 v22, s[6:7], s34, v22
	v_addc_co_u32_e64 v23, s[6:7], v24, v23, s[6:7]
	global_load_ushort v22, v[22:23], off
	s_nop 0
	global_load_ushort v23, v[4:5], off
	s_waitcnt vmcnt(1)
	v_lshlrev_b32_e32 v22, 16, v22
	s_waitcnt vmcnt(0)
	v_lshlrev_b32_e32 v23, 16, v23
	v_fmac_f32_e32 v12, v23, v22
	s_branch .LBB63_12
.LBB63_19:
	s_endpgm
	.section	.rodata,"a",@progbits
	.p2align	6, 0x0
	.amdhsa_kernel _ZN2at6native12_GLOBAL__N_132conv_depthwise2d_backward_kernelILi0ELi0EN3c108BFloat16EiEEvN5torch10headeronly6detail27GenericPackedTensorAccessorINS7_14TensorAccessorINS3_8ArrayRefIlEEKT1_Lm3ENS6_16DefaultPtrTraitsEiEENS_6detail16IndexBoundsCheckILm4EiEESD_Lm4ESE_iEENS8_INS9_ISB_SC_Lm3ESE_iEESI_SC_Lm4ESE_iEESJ_T2_iiiiiiiiiiiiiii
		.amdhsa_group_segment_fixed_size 0
		.amdhsa_private_segment_fixed_size 0
		.amdhsa_kernarg_size 440
		.amdhsa_user_sgpr_count 6
		.amdhsa_user_sgpr_private_segment_buffer 1
		.amdhsa_user_sgpr_dispatch_ptr 0
		.amdhsa_user_sgpr_queue_ptr 0
		.amdhsa_user_sgpr_kernarg_segment_ptr 1
		.amdhsa_user_sgpr_dispatch_id 0
		.amdhsa_user_sgpr_flat_scratch_init 0
		.amdhsa_user_sgpr_private_segment_size 0
		.amdhsa_uses_dynamic_stack 0
		.amdhsa_system_sgpr_private_segment_wavefront_offset 0
		.amdhsa_system_sgpr_workgroup_id_x 1
		.amdhsa_system_sgpr_workgroup_id_y 0
		.amdhsa_system_sgpr_workgroup_id_z 0
		.amdhsa_system_sgpr_workgroup_info 0
		.amdhsa_system_vgpr_workitem_id 0
		.amdhsa_next_free_vgpr 27
		.amdhsa_next_free_sgpr 61
		.amdhsa_reserve_vcc 1
		.amdhsa_reserve_flat_scratch 0
		.amdhsa_float_round_mode_32 0
		.amdhsa_float_round_mode_16_64 0
		.amdhsa_float_denorm_mode_32 3
		.amdhsa_float_denorm_mode_16_64 3
		.amdhsa_dx10_clamp 1
		.amdhsa_ieee_mode 1
		.amdhsa_fp16_overflow 0
		.amdhsa_exception_fp_ieee_invalid_op 0
		.amdhsa_exception_fp_denorm_src 0
		.amdhsa_exception_fp_ieee_div_zero 0
		.amdhsa_exception_fp_ieee_overflow 0
		.amdhsa_exception_fp_ieee_underflow 0
		.amdhsa_exception_fp_ieee_inexact 0
		.amdhsa_exception_int_div_zero 0
	.end_amdhsa_kernel
	.section	.text._ZN2at6native12_GLOBAL__N_132conv_depthwise2d_backward_kernelILi0ELi0EN3c108BFloat16EiEEvN5torch10headeronly6detail27GenericPackedTensorAccessorINS7_14TensorAccessorINS3_8ArrayRefIlEEKT1_Lm3ENS6_16DefaultPtrTraitsEiEENS_6detail16IndexBoundsCheckILm4EiEESD_Lm4ESE_iEENS8_INS9_ISB_SC_Lm3ESE_iEESI_SC_Lm4ESE_iEESJ_T2_iiiiiiiiiiiiiii,"axG",@progbits,_ZN2at6native12_GLOBAL__N_132conv_depthwise2d_backward_kernelILi0ELi0EN3c108BFloat16EiEEvN5torch10headeronly6detail27GenericPackedTensorAccessorINS7_14TensorAccessorINS3_8ArrayRefIlEEKT1_Lm3ENS6_16DefaultPtrTraitsEiEENS_6detail16IndexBoundsCheckILm4EiEESD_Lm4ESE_iEENS8_INS9_ISB_SC_Lm3ESE_iEESI_SC_Lm4ESE_iEESJ_T2_iiiiiiiiiiiiiii,comdat
.Lfunc_end63:
	.size	_ZN2at6native12_GLOBAL__N_132conv_depthwise2d_backward_kernelILi0ELi0EN3c108BFloat16EiEEvN5torch10headeronly6detail27GenericPackedTensorAccessorINS7_14TensorAccessorINS3_8ArrayRefIlEEKT1_Lm3ENS6_16DefaultPtrTraitsEiEENS_6detail16IndexBoundsCheckILm4EiEESD_Lm4ESE_iEENS8_INS9_ISB_SC_Lm3ESE_iEESI_SC_Lm4ESE_iEESJ_T2_iiiiiiiiiiiiiii, .Lfunc_end63-_ZN2at6native12_GLOBAL__N_132conv_depthwise2d_backward_kernelILi0ELi0EN3c108BFloat16EiEEvN5torch10headeronly6detail27GenericPackedTensorAccessorINS7_14TensorAccessorINS3_8ArrayRefIlEEKT1_Lm3ENS6_16DefaultPtrTraitsEiEENS_6detail16IndexBoundsCheckILm4EiEESD_Lm4ESE_iEENS8_INS9_ISB_SC_Lm3ESE_iEESI_SC_Lm4ESE_iEESJ_T2_iiiiiiiiiiiiiii
                                        ; -- End function
	.set _ZN2at6native12_GLOBAL__N_132conv_depthwise2d_backward_kernelILi0ELi0EN3c108BFloat16EiEEvN5torch10headeronly6detail27GenericPackedTensorAccessorINS7_14TensorAccessorINS3_8ArrayRefIlEEKT1_Lm3ENS6_16DefaultPtrTraitsEiEENS_6detail16IndexBoundsCheckILm4EiEESD_Lm4ESE_iEENS8_INS9_ISB_SC_Lm3ESE_iEESI_SC_Lm4ESE_iEESJ_T2_iiiiiiiiiiiiiii.num_vgpr, 27
	.set _ZN2at6native12_GLOBAL__N_132conv_depthwise2d_backward_kernelILi0ELi0EN3c108BFloat16EiEEvN5torch10headeronly6detail27GenericPackedTensorAccessorINS7_14TensorAccessorINS3_8ArrayRefIlEEKT1_Lm3ENS6_16DefaultPtrTraitsEiEENS_6detail16IndexBoundsCheckILm4EiEESD_Lm4ESE_iEENS8_INS9_ISB_SC_Lm3ESE_iEESI_SC_Lm4ESE_iEESJ_T2_iiiiiiiiiiiiiii.num_agpr, 0
	.set _ZN2at6native12_GLOBAL__N_132conv_depthwise2d_backward_kernelILi0ELi0EN3c108BFloat16EiEEvN5torch10headeronly6detail27GenericPackedTensorAccessorINS7_14TensorAccessorINS3_8ArrayRefIlEEKT1_Lm3ENS6_16DefaultPtrTraitsEiEENS_6detail16IndexBoundsCheckILm4EiEESD_Lm4ESE_iEENS8_INS9_ISB_SC_Lm3ESE_iEESI_SC_Lm4ESE_iEESJ_T2_iiiiiiiiiiiiiii.numbered_sgpr, 61
	.set _ZN2at6native12_GLOBAL__N_132conv_depthwise2d_backward_kernelILi0ELi0EN3c108BFloat16EiEEvN5torch10headeronly6detail27GenericPackedTensorAccessorINS7_14TensorAccessorINS3_8ArrayRefIlEEKT1_Lm3ENS6_16DefaultPtrTraitsEiEENS_6detail16IndexBoundsCheckILm4EiEESD_Lm4ESE_iEENS8_INS9_ISB_SC_Lm3ESE_iEESI_SC_Lm4ESE_iEESJ_T2_iiiiiiiiiiiiiii.num_named_barrier, 0
	.set _ZN2at6native12_GLOBAL__N_132conv_depthwise2d_backward_kernelILi0ELi0EN3c108BFloat16EiEEvN5torch10headeronly6detail27GenericPackedTensorAccessorINS7_14TensorAccessorINS3_8ArrayRefIlEEKT1_Lm3ENS6_16DefaultPtrTraitsEiEENS_6detail16IndexBoundsCheckILm4EiEESD_Lm4ESE_iEENS8_INS9_ISB_SC_Lm3ESE_iEESI_SC_Lm4ESE_iEESJ_T2_iiiiiiiiiiiiiii.private_seg_size, 0
	.set _ZN2at6native12_GLOBAL__N_132conv_depthwise2d_backward_kernelILi0ELi0EN3c108BFloat16EiEEvN5torch10headeronly6detail27GenericPackedTensorAccessorINS7_14TensorAccessorINS3_8ArrayRefIlEEKT1_Lm3ENS6_16DefaultPtrTraitsEiEENS_6detail16IndexBoundsCheckILm4EiEESD_Lm4ESE_iEENS8_INS9_ISB_SC_Lm3ESE_iEESI_SC_Lm4ESE_iEESJ_T2_iiiiiiiiiiiiiii.uses_vcc, 1
	.set _ZN2at6native12_GLOBAL__N_132conv_depthwise2d_backward_kernelILi0ELi0EN3c108BFloat16EiEEvN5torch10headeronly6detail27GenericPackedTensorAccessorINS7_14TensorAccessorINS3_8ArrayRefIlEEKT1_Lm3ENS6_16DefaultPtrTraitsEiEENS_6detail16IndexBoundsCheckILm4EiEESD_Lm4ESE_iEENS8_INS9_ISB_SC_Lm3ESE_iEESI_SC_Lm4ESE_iEESJ_T2_iiiiiiiiiiiiiii.uses_flat_scratch, 0
	.set _ZN2at6native12_GLOBAL__N_132conv_depthwise2d_backward_kernelILi0ELi0EN3c108BFloat16EiEEvN5torch10headeronly6detail27GenericPackedTensorAccessorINS7_14TensorAccessorINS3_8ArrayRefIlEEKT1_Lm3ENS6_16DefaultPtrTraitsEiEENS_6detail16IndexBoundsCheckILm4EiEESD_Lm4ESE_iEENS8_INS9_ISB_SC_Lm3ESE_iEESI_SC_Lm4ESE_iEESJ_T2_iiiiiiiiiiiiiii.has_dyn_sized_stack, 0
	.set _ZN2at6native12_GLOBAL__N_132conv_depthwise2d_backward_kernelILi0ELi0EN3c108BFloat16EiEEvN5torch10headeronly6detail27GenericPackedTensorAccessorINS7_14TensorAccessorINS3_8ArrayRefIlEEKT1_Lm3ENS6_16DefaultPtrTraitsEiEENS_6detail16IndexBoundsCheckILm4EiEESD_Lm4ESE_iEENS8_INS9_ISB_SC_Lm3ESE_iEESI_SC_Lm4ESE_iEESJ_T2_iiiiiiiiiiiiiii.has_recursion, 0
	.set _ZN2at6native12_GLOBAL__N_132conv_depthwise2d_backward_kernelILi0ELi0EN3c108BFloat16EiEEvN5torch10headeronly6detail27GenericPackedTensorAccessorINS7_14TensorAccessorINS3_8ArrayRefIlEEKT1_Lm3ENS6_16DefaultPtrTraitsEiEENS_6detail16IndexBoundsCheckILm4EiEESD_Lm4ESE_iEENS8_INS9_ISB_SC_Lm3ESE_iEESI_SC_Lm4ESE_iEESJ_T2_iiiiiiiiiiiiiii.has_indirect_call, 0
	.section	.AMDGPU.csdata,"",@progbits
; Kernel info:
; codeLenInByte = 1404
; TotalNumSgprs: 65
; NumVgprs: 27
; ScratchSize: 0
; MemoryBound: 0
; FloatMode: 240
; IeeeMode: 1
; LDSByteSize: 0 bytes/workgroup (compile time only)
; SGPRBlocks: 8
; VGPRBlocks: 6
; NumSGPRsForWavesPerEU: 65
; NumVGPRsForWavesPerEU: 27
; Occupancy: 9
; WaveLimiterHint : 0
; COMPUTE_PGM_RSRC2:SCRATCH_EN: 0
; COMPUTE_PGM_RSRC2:USER_SGPR: 6
; COMPUTE_PGM_RSRC2:TRAP_HANDLER: 0
; COMPUTE_PGM_RSRC2:TGID_X_EN: 1
; COMPUTE_PGM_RSRC2:TGID_Y_EN: 0
; COMPUTE_PGM_RSRC2:TGID_Z_EN: 0
; COMPUTE_PGM_RSRC2:TIDIG_COMP_CNT: 0
	.section	.text._ZN2at6native12_GLOBAL__N_135conv_depthwise2d_grad_weight_kernelIdjEEvN5torch10headeronly6detail27GenericPackedTensorAccessorINS5_14TensorAccessorIN3c108ArrayRefIlEEKT_Lm3ENS4_16DefaultPtrTraitsEiEENS_6detail16IndexBoundsCheckILm4EiEESC_Lm4ESD_iEESI_NS6_INS7_ISA_SB_Lm3ESD_iEESH_SB_Lm4ESD_iEEiiiiiiiiiiiiiiii,"axG",@progbits,_ZN2at6native12_GLOBAL__N_135conv_depthwise2d_grad_weight_kernelIdjEEvN5torch10headeronly6detail27GenericPackedTensorAccessorINS5_14TensorAccessorIN3c108ArrayRefIlEEKT_Lm3ENS4_16DefaultPtrTraitsEiEENS_6detail16IndexBoundsCheckILm4EiEESC_Lm4ESD_iEESI_NS6_INS7_ISA_SB_Lm3ESD_iEESH_SB_Lm4ESD_iEEiiiiiiiiiiiiiiii,comdat
	.globl	_ZN2at6native12_GLOBAL__N_135conv_depthwise2d_grad_weight_kernelIdjEEvN5torch10headeronly6detail27GenericPackedTensorAccessorINS5_14TensorAccessorIN3c108ArrayRefIlEEKT_Lm3ENS4_16DefaultPtrTraitsEiEENS_6detail16IndexBoundsCheckILm4EiEESC_Lm4ESD_iEESI_NS6_INS7_ISA_SB_Lm3ESD_iEESH_SB_Lm4ESD_iEEiiiiiiiiiiiiiiii ; -- Begin function _ZN2at6native12_GLOBAL__N_135conv_depthwise2d_grad_weight_kernelIdjEEvN5torch10headeronly6detail27GenericPackedTensorAccessorINS5_14TensorAccessorIN3c108ArrayRefIlEEKT_Lm3ENS4_16DefaultPtrTraitsEiEENS_6detail16IndexBoundsCheckILm4EiEESC_Lm4ESD_iEESI_NS6_INS7_ISA_SB_Lm3ESD_iEESH_SB_Lm4ESD_iEEiiiiiiiiiiiiiiii
	.p2align	8
	.type	_ZN2at6native12_GLOBAL__N_135conv_depthwise2d_grad_weight_kernelIdjEEvN5torch10headeronly6detail27GenericPackedTensorAccessorINS5_14TensorAccessorIN3c108ArrayRefIlEEKT_Lm3ENS4_16DefaultPtrTraitsEiEENS_6detail16IndexBoundsCheckILm4EiEESC_Lm4ESD_iEESI_NS6_INS7_ISA_SB_Lm3ESD_iEESH_SB_Lm4ESD_iEEiiiiiiiiiiiiiiii,@function
_ZN2at6native12_GLOBAL__N_135conv_depthwise2d_grad_weight_kernelIdjEEvN5torch10headeronly6detail27GenericPackedTensorAccessorINS5_14TensorAccessorIN3c108ArrayRefIlEEKT_Lm3ENS4_16DefaultPtrTraitsEiEENS_6detail16IndexBoundsCheckILm4EiEESC_Lm4ESD_iEESI_NS6_INS7_ISA_SB_Lm3ESD_iEESH_SB_Lm4ESD_iEEiiiiiiiiiiiiiiii: ; @_ZN2at6native12_GLOBAL__N_135conv_depthwise2d_grad_weight_kernelIdjEEvN5torch10headeronly6detail27GenericPackedTensorAccessorINS5_14TensorAccessorIN3c108ArrayRefIlEEKT_Lm3ENS4_16DefaultPtrTraitsEiEENS_6detail16IndexBoundsCheckILm4EiEESC_Lm4ESD_iEESI_NS6_INS7_ISA_SB_Lm3ESD_iEESH_SB_Lm4ESD_iEEiiiiiiiiiiiiiiii
; %bb.0:
	s_load_dwordx16 s[8:23], s[4:5], 0x78
	s_abs_i32 s2, s6
	s_ashr_i32 s1, s6, 31
	v_lshrrev_b32_e32 v12, 6, v0
	v_and_b32_e32 v11, 63, v0
	s_waitcnt lgkmcnt(0)
	s_abs_i32 s0, s16
	v_cvt_f32_u32_e32 v1, s0
	s_sub_i32 s7, 0, s0
	s_ashr_i32 s3, s16, 31
	s_xor_b32 s3, s1, s3
	v_rcp_iflag_f32_e32 v1, v1
	v_cmp_gt_i32_e32 vcc, s8, v12
	v_mul_f32_e32 v1, 0x4f7ffffe, v1
	v_cvt_u32_f32_e32 v1, v1
	v_readfirstlane_b32 s24, v1
	s_mul_i32 s7, s7, s24
	s_mul_hi_u32 s7, s24, s7
	s_add_i32 s24, s24, s7
	s_mul_hi_u32 s7, s2, s24
	s_mul_i32 s24, s7, s0
	s_sub_i32 s24, s2, s24
	s_add_i32 s25, s7, 1
	s_sub_i32 s26, s24, s0
	s_cmp_ge_u32 s24, s0
	s_cselect_b32 s7, s25, s7
	s_cselect_b32 s24, s26, s24
	s_add_i32 s25, s7, 1
	s_cmp_ge_u32 s24, s0
	s_cselect_b32 s0, s25, s7
	s_abs_i32 s7, s17
	v_cvt_f32_u32_e32 v1, s7
	s_xor_b32 s0, s0, s3
	s_sub_i32 s0, s0, s3
	s_mul_i32 s3, s0, s16
	v_rcp_iflag_f32_e32 v1, v1
	s_sub_i32 s24, 0, s7
	s_sub_i32 s30, s6, s3
	s_ashr_i32 s25, s0, 31
	v_mul_f32_e32 v1, 0x4f7ffffe, v1
	v_cvt_u32_f32_e32 v1, v1
	s_abs_i32 s0, s0
	s_mul_i32 s17, s17, s16
	v_readfirstlane_b32 s3, v1
	s_mul_i32 s24, s24, s3
	s_mul_hi_u32 s6, s3, s24
	s_add_i32 s3, s3, s6
	s_mul_hi_u32 s3, s0, s3
	s_mul_i32 s3, s3, s7
	s_sub_i32 s0, s0, s3
	s_sub_i32 s3, s0, s7
	s_cmp_ge_u32 s0, s7
	s_cselect_b32 s0, s3, s0
	s_sub_i32 s3, s0, s7
	s_cmp_ge_u32 s0, s7
	s_cselect_b32 s0, s3, s0
	s_abs_i32 s3, s17
	v_cvt_f32_u32_e32 v1, s3
	s_ashr_i32 s6, s17, 31
	s_xor_b32 s7, s0, s25
	s_xor_b32 s0, s1, s6
	v_rcp_iflag_f32_e32 v1, v1
	s_sub_i32 s1, 0, s3
	s_sub_i32 s31, s7, s25
	v_mul_f32_e32 v1, 0x4f7ffffe, v1
	v_cvt_u32_f32_e32 v1, v1
	v_readfirstlane_b32 s6, v1
	s_mul_i32 s1, s1, s6
	s_mul_hi_u32 s1, s6, s1
	s_add_i32 s6, s6, s1
	s_mul_hi_u32 s1, s2, s6
	s_mul_i32 s6, s1, s3
	s_sub_i32 s2, s2, s6
	s_add_i32 s7, s1, 1
	s_sub_i32 s6, s2, s3
	s_cmp_ge_u32 s2, s3
	s_cselect_b32 s1, s7, s1
	s_cselect_b32 s2, s6, s2
	s_add_i32 s6, s1, 1
	s_cmp_ge_u32 s2, s3
	s_cselect_b32 s1, s6, s1
	s_abs_i32 s2, s11
	v_cvt_f32_u32_e32 v3, s2
	s_load_dwordx2 s[6:7], s[4:5], 0x50
	s_load_dword s3, s[4:5], 0xc4
	v_mov_b32_e32 v1, 0
	v_rcp_iflag_f32_e32 v3, v3
	s_xor_b32 s1, s1, s0
	v_mov_b32_e32 v2, 0
	s_waitcnt lgkmcnt(0)
	s_bfe_u32 s34, s3, 0xa0006
	v_mul_f32_e32 v3, 0x4f7ffffe, v3
	v_cvt_u32_f32_e32 v3, v3
	s_sub_i32 s33, s1, s0
	v_readfirstlane_b32 s3, v3
	s_and_saveexec_b64 s[24:25], vcc
	s_cbranch_execz .LBB64_10
; %bb.1:
	s_sub_i32 s26, 0, s2
	v_cvt_f32_u32_e32 v1, s14
	s_mul_i32 s26, s26, s3
	s_mul_hi_u32 s26, s3, s26
	s_abs_i32 s36, s33
	s_add_i32 s3, s3, s26
	s_mul_hi_u32 s3, s36, s3
	v_rcp_iflag_f32_e32 v1, v1
	s_load_dwordx2 s[26:27], s[4:5], 0x0
	s_load_dwordx2 s[28:29], s[4:5], 0x28
	s_mul_i32 s5, s3, s2
	s_ashr_i32 s35, s33, 31
	s_ashr_i32 s11, s11, 31
	s_sub_i32 s5, s36, s5
	s_xor_b32 s4, s35, s11
	s_add_i32 s11, s3, 1
	s_sub_i32 s35, s5, s2
	s_cmp_ge_u32 s5, s2
	v_mul_f32_e32 v1, 0x4f7ffffe, v1
	s_cselect_b32 s3, s11, s3
	v_cvt_u32_f32_e32 v1, v1
	s_cselect_b32 s5, s35, s5
	s_add_i32 s11, s3, 1
	s_cmp_ge_u32 s5, s2
	s_cselect_b32 s2, s11, s3
	s_sub_i32 s36, 0, s14
	v_mul_lo_u32 v2, s36, v1
	v_mul_lo_u32 v7, s10, v12
	s_xor_b32 s2, s2, s4
	s_sub_i32 s35, s2, s4
	v_mul_hi_u32 v2, v1, v2
	s_mul_i32 s2, s30, s22
	s_sub_i32 s37, s2, s20
	s_mul_i32 s2, s31, s23
	v_add_u32_e32 v1, v1, v2
	v_mov_b32_e32 v2, 0
	s_sub_i32 s38, s2, s21
	v_mad_u64_u32 v[3:4], s[2:3], v1, v11, 0
	v_lshlrev_b64 v[5:6], 6, v[1:2]
	v_add_u32_e32 v1, s1, v7
	s_mul_i32 s15, s15, s14
	v_subrev_u32_e32 v1, s0, v1
	v_mul_lo_u32 v13, s15, v1
	s_mul_i32 s39, s15, s10
	v_mov_b32_e32 v1, 0
	v_cmp_gt_u32_e32 vcc, s15, v11
	s_mul_i32 s39, s39, s34
	v_mov_b32_e32 v2, 0
	s_mov_b64 s[10:11], 0
	s_branch .LBB64_4
.LBB64_2:                               ;   in Loop: Header=BB64_4 Depth=1
	s_or_b64 exec, exec, s[22:23]
.LBB64_3:                               ;   in Loop: Header=BB64_4 Depth=1
	s_or_b64 exec, exec, s[20:21]
	v_add_u32_e32 v12, s34, v12
	v_cmp_le_i32_e64 s[0:1], s8, v12
	s_or_b64 s[10:11], s[0:1], s[10:11]
	v_add_u32_e32 v13, s39, v13
	s_andn2_b64 exec, exec, s[10:11]
	s_cbranch_execz .LBB64_9
.LBB64_4:                               ; =>This Loop Header: Depth=1
                                        ;     Child Loop BB64_7 Depth 2
	s_and_saveexec_b64 s[20:21], vcc
	s_cbranch_execz .LBB64_3
; %bb.5:                                ;   in Loop: Header=BB64_4 Depth=1
	v_mul_lo_u32 v7, v12, s9
	s_mov_b64 s[22:23], 0
	v_mov_b32_e32 v9, v11
	v_add_u32_e32 v7, s35, v7
	v_mul_lo_u32 v14, v7, s13
	v_mov_b32_e32 v8, v4
	v_mov_b32_e32 v7, v3
	s_branch .LBB64_7
.LBB64_6:                               ;   in Loop: Header=BB64_7 Depth=2
	s_or_b64 exec, exec, s[2:3]
	v_add_u32_e32 v9, 64, v9
	v_cmp_le_u32_e64 s[0:1], s15, v9
	s_or_b64 s[22:23], s[0:1], s[22:23]
	v_add_co_u32_e64 v7, s[0:1], v7, v5
	v_addc_co_u32_e64 v8, s[0:1], v8, v6, s[0:1]
	s_andn2_b64 exec, exec, s[22:23]
	s_cbranch_execz .LBB64_2
.LBB64_7:                               ;   Parent Loop BB64_4 Depth=1
                                        ; =>  This Inner Loop Header: Depth=2
	v_not_b32_e32 v10, v8
	v_mad_u64_u32 v[15:16], s[0:1], s36, v8, v[9:10]
	v_mad_u64_u32 v[16:17], s[0:1], s14, v10, v[9:10]
	v_add_u32_e32 v10, 1, v8
	v_cmp_le_u32_e64 s[0:1], s14, v15
	v_cndmask_b32_e64 v10, v8, v10, s[0:1]
	v_cndmask_b32_e64 v15, v15, v16, s[0:1]
	v_add_u32_e32 v16, 1, v10
	v_cmp_le_u32_e64 s[0:1], s14, v15
	v_cndmask_b32_e64 v10, v10, v16, s[0:1]
	v_mad_u64_u32 v[15:16], s[0:1], s36, v10, v[9:10]
	v_mul_lo_u32 v16, v10, s19
	v_mul_lo_u32 v15, v15, s18
	v_add_u32_e32 v10, s37, v15
	v_add_u32_e32 v15, s38, v16
	v_or_b32_e32 v16, v10, v15
	v_cmp_gt_i32_e64 s[2:3], s12, v10
	v_cmp_gt_i32_e64 s[4:5], s13, v15
	v_cmp_lt_i32_e64 s[0:1], -1, v16
	s_and_b64 s[2:3], s[2:3], s[4:5]
	s_and_b64 s[0:1], s[2:3], s[0:1]
	s_and_saveexec_b64 s[2:3], s[0:1]
	s_cbranch_execz .LBB64_6
; %bb.8:                                ;   in Loop: Header=BB64_7 Depth=2
	v_add_u32_e32 v15, v15, v14
	v_mad_u64_u32 v[15:16], s[0:1], v15, s12, v[10:11]
	v_add_u32_e32 v17, v13, v9
	v_ashrrev_i32_e32 v18, 31, v17
	v_ashrrev_i32_e32 v16, 31, v15
	v_lshlrev_b64 v[15:16], 3, v[15:16]
	s_waitcnt lgkmcnt(0)
	v_mov_b32_e32 v10, s29
	v_add_co_u32_e64 v15, s[0:1], s28, v15
	v_lshlrev_b64 v[17:18], 3, v[17:18]
	v_addc_co_u32_e64 v16, s[0:1], v10, v16, s[0:1]
	v_mov_b32_e32 v10, s27
	v_add_co_u32_e64 v17, s[0:1], s26, v17
	v_addc_co_u32_e64 v18, s[0:1], v10, v18, s[0:1]
	global_load_dwordx2 v[15:16], v[15:16], off
	s_nop 0
	global_load_dwordx2 v[17:18], v[17:18], off
	s_waitcnt vmcnt(0)
	v_fma_f64 v[1:2], v[15:16], v[17:18], v[1:2]
	s_branch .LBB64_6
.LBB64_9:
	s_or_b64 exec, exec, s[10:11]
.LBB64_10:
	s_or_b64 exec, exec, s[24:25]
	v_mbcnt_lo_u32_b32 v3, -1, 0
	v_mbcnt_hi_u32_b32 v10, -1, v3
	v_mov_b32_e32 v3, 0x80
	v_lshl_or_b32 v5, v10, 2, v3
	ds_bpermute_b32 v3, v5, v1
	ds_bpermute_b32 v4, v5, v2
	v_and_b32_e32 v12, 63, v10
	v_cmp_gt_u32_e32 vcc, 48, v12
	s_waitcnt lgkmcnt(0)
	s_barrier
	v_add_f64 v[1:2], v[1:2], v[3:4]
	v_cndmask_b32_e64 v3, 0, 16, vcc
	v_add_lshl_u32 v6, v3, v10, 2
	v_cmp_gt_u32_e32 vcc, 56, v12
	ds_bpermute_b32 v3, v6, v1
	ds_bpermute_b32 v4, v6, v2
	s_waitcnt lgkmcnt(0)
	v_add_f64 v[1:2], v[1:2], v[3:4]
	v_cndmask_b32_e64 v3, 0, 8, vcc
	v_add_lshl_u32 v7, v3, v10, 2
	v_cmp_gt_u32_e32 vcc, 60, v12
	ds_bpermute_b32 v3, v7, v1
	ds_bpermute_b32 v4, v7, v2
	s_waitcnt lgkmcnt(0)
	;; [unrolled: 7-line block ×3, first 2 shown]
	v_add_f64 v[1:2], v[1:2], v[3:4]
	v_cndmask_b32_e64 v3, 0, 2, vcc
	v_add_lshl_u32 v9, v3, v10, 2
	v_cmp_ne_u32_e32 vcc, 63, v12
	ds_bpermute_b32 v3, v9, v1
	ds_bpermute_b32 v4, v9, v2
	s_waitcnt lgkmcnt(0)
	v_add_f64 v[1:2], v[1:2], v[3:4]
	v_addc_co_u32_e32 v3, vcc, 0, v10, vcc
	v_lshlrev_b32_e32 v10, 2, v3
	v_cmp_eq_u32_e32 vcc, 0, v11
	ds_bpermute_b32 v3, v10, v1
	ds_bpermute_b32 v4, v10, v2
	s_and_saveexec_b64 s[0:1], vcc
	s_cbranch_execz .LBB64_12
; %bb.11:
	s_waitcnt lgkmcnt(0)
	v_add_f64 v[1:2], v[1:2], v[3:4]
	v_lshrrev_b32_e32 v3, 3, v0
	v_add_u32_e32 v3, 0, v3
	ds_write_b64 v3, v[1:2]
.LBB64_12:
	s_or_b64 exec, exec, s[0:1]
	v_mov_b32_e32 v1, 0
	v_mov_b32_e32 v2, 0
	v_cmp_gt_u32_e32 vcc, s34, v0
	s_waitcnt lgkmcnt(0)
	s_barrier
	s_and_saveexec_b64 s[0:1], vcc
	s_cbranch_execnz .LBB64_16
; %bb.13:
	s_or_b64 exec, exec, s[0:1]
	v_cmp_gt_u32_e32 vcc, 64, v0
	s_and_saveexec_b64 s[0:1], vcc
	s_cbranch_execnz .LBB64_17
.LBB64_14:
	s_or_b64 exec, exec, s[0:1]
	v_cmp_eq_u32_e32 vcc, 0, v0
	s_and_saveexec_b64 s[0:1], vcc
	s_cbranch_execnz .LBB64_18
.LBB64_15:
	s_endpgm
.LBB64_16:
	v_lshl_add_u32 v1, v11, 3, 0
	ds_read_b64 v[1:2], v1
	s_or_b64 exec, exec, s[0:1]
	v_cmp_gt_u32_e32 vcc, 64, v0
	s_and_saveexec_b64 s[0:1], vcc
	s_cbranch_execz .LBB64_14
.LBB64_17:
	s_waitcnt lgkmcnt(0)
	ds_bpermute_b32 v3, v5, v1
	ds_bpermute_b32 v4, v5, v2
	s_waitcnt lgkmcnt(0)
	v_add_f64 v[1:2], v[1:2], v[3:4]
	ds_bpermute_b32 v3, v6, v1
	ds_bpermute_b32 v4, v6, v2
	s_waitcnt lgkmcnt(0)
	v_add_f64 v[1:2], v[1:2], v[3:4]
	;; [unrolled: 4-line block ×6, first 2 shown]
	s_or_b64 exec, exec, s[0:1]
	v_cmp_eq_u32_e32 vcc, 0, v0
	s_and_saveexec_b64 s[0:1], vcc
	s_cbranch_execz .LBB64_15
.LBB64_18:
	s_mul_i32 s0, s31, s16
	s_add_i32 s0, s0, s30
	s_mul_i32 s33, s33, s17
	s_add_i32 s0, s0, s33
	s_ashr_i32 s1, s0, 31
	s_lshl_b64 s[0:1], s[0:1], 3
	s_add_u32 s0, s6, s0
	s_addc_u32 s1, s7, s1
	v_mov_b32_e32 v0, 0
	s_waitcnt lgkmcnt(0)
	global_store_dwordx2 v0, v[1:2], s[0:1]
	s_endpgm
	.section	.rodata,"a",@progbits
	.p2align	6, 0x0
	.amdhsa_kernel _ZN2at6native12_GLOBAL__N_135conv_depthwise2d_grad_weight_kernelIdjEEvN5torch10headeronly6detail27GenericPackedTensorAccessorINS5_14TensorAccessorIN3c108ArrayRefIlEEKT_Lm3ENS4_16DefaultPtrTraitsEiEENS_6detail16IndexBoundsCheckILm4EiEESC_Lm4ESD_iEESI_NS6_INS7_ISA_SB_Lm3ESD_iEESH_SB_Lm4ESD_iEEiiiiiiiiiiiiiiii
		.amdhsa_group_segment_fixed_size 0
		.amdhsa_private_segment_fixed_size 0
		.amdhsa_kernarg_size 440
		.amdhsa_user_sgpr_count 6
		.amdhsa_user_sgpr_private_segment_buffer 1
		.amdhsa_user_sgpr_dispatch_ptr 0
		.amdhsa_user_sgpr_queue_ptr 0
		.amdhsa_user_sgpr_kernarg_segment_ptr 1
		.amdhsa_user_sgpr_dispatch_id 0
		.amdhsa_user_sgpr_flat_scratch_init 0
		.amdhsa_user_sgpr_private_segment_size 0
		.amdhsa_uses_dynamic_stack 0
		.amdhsa_system_sgpr_private_segment_wavefront_offset 0
		.amdhsa_system_sgpr_workgroup_id_x 1
		.amdhsa_system_sgpr_workgroup_id_y 0
		.amdhsa_system_sgpr_workgroup_id_z 0
		.amdhsa_system_sgpr_workgroup_info 0
		.amdhsa_system_vgpr_workitem_id 0
		.amdhsa_next_free_vgpr 19
		.amdhsa_next_free_sgpr 40
		.amdhsa_reserve_vcc 1
		.amdhsa_reserve_flat_scratch 0
		.amdhsa_float_round_mode_32 0
		.amdhsa_float_round_mode_16_64 0
		.amdhsa_float_denorm_mode_32 3
		.amdhsa_float_denorm_mode_16_64 3
		.amdhsa_dx10_clamp 1
		.amdhsa_ieee_mode 1
		.amdhsa_fp16_overflow 0
		.amdhsa_exception_fp_ieee_invalid_op 0
		.amdhsa_exception_fp_denorm_src 0
		.amdhsa_exception_fp_ieee_div_zero 0
		.amdhsa_exception_fp_ieee_overflow 0
		.amdhsa_exception_fp_ieee_underflow 0
		.amdhsa_exception_fp_ieee_inexact 0
		.amdhsa_exception_int_div_zero 0
	.end_amdhsa_kernel
	.section	.text._ZN2at6native12_GLOBAL__N_135conv_depthwise2d_grad_weight_kernelIdjEEvN5torch10headeronly6detail27GenericPackedTensorAccessorINS5_14TensorAccessorIN3c108ArrayRefIlEEKT_Lm3ENS4_16DefaultPtrTraitsEiEENS_6detail16IndexBoundsCheckILm4EiEESC_Lm4ESD_iEESI_NS6_INS7_ISA_SB_Lm3ESD_iEESH_SB_Lm4ESD_iEEiiiiiiiiiiiiiiii,"axG",@progbits,_ZN2at6native12_GLOBAL__N_135conv_depthwise2d_grad_weight_kernelIdjEEvN5torch10headeronly6detail27GenericPackedTensorAccessorINS5_14TensorAccessorIN3c108ArrayRefIlEEKT_Lm3ENS4_16DefaultPtrTraitsEiEENS_6detail16IndexBoundsCheckILm4EiEESC_Lm4ESD_iEESI_NS6_INS7_ISA_SB_Lm3ESD_iEESH_SB_Lm4ESD_iEEiiiiiiiiiiiiiiii,comdat
.Lfunc_end64:
	.size	_ZN2at6native12_GLOBAL__N_135conv_depthwise2d_grad_weight_kernelIdjEEvN5torch10headeronly6detail27GenericPackedTensorAccessorINS5_14TensorAccessorIN3c108ArrayRefIlEEKT_Lm3ENS4_16DefaultPtrTraitsEiEENS_6detail16IndexBoundsCheckILm4EiEESC_Lm4ESD_iEESI_NS6_INS7_ISA_SB_Lm3ESD_iEESH_SB_Lm4ESD_iEEiiiiiiiiiiiiiiii, .Lfunc_end64-_ZN2at6native12_GLOBAL__N_135conv_depthwise2d_grad_weight_kernelIdjEEvN5torch10headeronly6detail27GenericPackedTensorAccessorINS5_14TensorAccessorIN3c108ArrayRefIlEEKT_Lm3ENS4_16DefaultPtrTraitsEiEENS_6detail16IndexBoundsCheckILm4EiEESC_Lm4ESD_iEESI_NS6_INS7_ISA_SB_Lm3ESD_iEESH_SB_Lm4ESD_iEEiiiiiiiiiiiiiiii
                                        ; -- End function
	.set _ZN2at6native12_GLOBAL__N_135conv_depthwise2d_grad_weight_kernelIdjEEvN5torch10headeronly6detail27GenericPackedTensorAccessorINS5_14TensorAccessorIN3c108ArrayRefIlEEKT_Lm3ENS4_16DefaultPtrTraitsEiEENS_6detail16IndexBoundsCheckILm4EiEESC_Lm4ESD_iEESI_NS6_INS7_ISA_SB_Lm3ESD_iEESH_SB_Lm4ESD_iEEiiiiiiiiiiiiiiii.num_vgpr, 19
	.set _ZN2at6native12_GLOBAL__N_135conv_depthwise2d_grad_weight_kernelIdjEEvN5torch10headeronly6detail27GenericPackedTensorAccessorINS5_14TensorAccessorIN3c108ArrayRefIlEEKT_Lm3ENS4_16DefaultPtrTraitsEiEENS_6detail16IndexBoundsCheckILm4EiEESC_Lm4ESD_iEESI_NS6_INS7_ISA_SB_Lm3ESD_iEESH_SB_Lm4ESD_iEEiiiiiiiiiiiiiiii.num_agpr, 0
	.set _ZN2at6native12_GLOBAL__N_135conv_depthwise2d_grad_weight_kernelIdjEEvN5torch10headeronly6detail27GenericPackedTensorAccessorINS5_14TensorAccessorIN3c108ArrayRefIlEEKT_Lm3ENS4_16DefaultPtrTraitsEiEENS_6detail16IndexBoundsCheckILm4EiEESC_Lm4ESD_iEESI_NS6_INS7_ISA_SB_Lm3ESD_iEESH_SB_Lm4ESD_iEEiiiiiiiiiiiiiiii.numbered_sgpr, 40
	.set _ZN2at6native12_GLOBAL__N_135conv_depthwise2d_grad_weight_kernelIdjEEvN5torch10headeronly6detail27GenericPackedTensorAccessorINS5_14TensorAccessorIN3c108ArrayRefIlEEKT_Lm3ENS4_16DefaultPtrTraitsEiEENS_6detail16IndexBoundsCheckILm4EiEESC_Lm4ESD_iEESI_NS6_INS7_ISA_SB_Lm3ESD_iEESH_SB_Lm4ESD_iEEiiiiiiiiiiiiiiii.num_named_barrier, 0
	.set _ZN2at6native12_GLOBAL__N_135conv_depthwise2d_grad_weight_kernelIdjEEvN5torch10headeronly6detail27GenericPackedTensorAccessorINS5_14TensorAccessorIN3c108ArrayRefIlEEKT_Lm3ENS4_16DefaultPtrTraitsEiEENS_6detail16IndexBoundsCheckILm4EiEESC_Lm4ESD_iEESI_NS6_INS7_ISA_SB_Lm3ESD_iEESH_SB_Lm4ESD_iEEiiiiiiiiiiiiiiii.private_seg_size, 0
	.set _ZN2at6native12_GLOBAL__N_135conv_depthwise2d_grad_weight_kernelIdjEEvN5torch10headeronly6detail27GenericPackedTensorAccessorINS5_14TensorAccessorIN3c108ArrayRefIlEEKT_Lm3ENS4_16DefaultPtrTraitsEiEENS_6detail16IndexBoundsCheckILm4EiEESC_Lm4ESD_iEESI_NS6_INS7_ISA_SB_Lm3ESD_iEESH_SB_Lm4ESD_iEEiiiiiiiiiiiiiiii.uses_vcc, 1
	.set _ZN2at6native12_GLOBAL__N_135conv_depthwise2d_grad_weight_kernelIdjEEvN5torch10headeronly6detail27GenericPackedTensorAccessorINS5_14TensorAccessorIN3c108ArrayRefIlEEKT_Lm3ENS4_16DefaultPtrTraitsEiEENS_6detail16IndexBoundsCheckILm4EiEESC_Lm4ESD_iEESI_NS6_INS7_ISA_SB_Lm3ESD_iEESH_SB_Lm4ESD_iEEiiiiiiiiiiiiiiii.uses_flat_scratch, 0
	.set _ZN2at6native12_GLOBAL__N_135conv_depthwise2d_grad_weight_kernelIdjEEvN5torch10headeronly6detail27GenericPackedTensorAccessorINS5_14TensorAccessorIN3c108ArrayRefIlEEKT_Lm3ENS4_16DefaultPtrTraitsEiEENS_6detail16IndexBoundsCheckILm4EiEESC_Lm4ESD_iEESI_NS6_INS7_ISA_SB_Lm3ESD_iEESH_SB_Lm4ESD_iEEiiiiiiiiiiiiiiii.has_dyn_sized_stack, 0
	.set _ZN2at6native12_GLOBAL__N_135conv_depthwise2d_grad_weight_kernelIdjEEvN5torch10headeronly6detail27GenericPackedTensorAccessorINS5_14TensorAccessorIN3c108ArrayRefIlEEKT_Lm3ENS4_16DefaultPtrTraitsEiEENS_6detail16IndexBoundsCheckILm4EiEESC_Lm4ESD_iEESI_NS6_INS7_ISA_SB_Lm3ESD_iEESH_SB_Lm4ESD_iEEiiiiiiiiiiiiiiii.has_recursion, 0
	.set _ZN2at6native12_GLOBAL__N_135conv_depthwise2d_grad_weight_kernelIdjEEvN5torch10headeronly6detail27GenericPackedTensorAccessorINS5_14TensorAccessorIN3c108ArrayRefIlEEKT_Lm3ENS4_16DefaultPtrTraitsEiEENS_6detail16IndexBoundsCheckILm4EiEESC_Lm4ESD_iEESI_NS6_INS7_ISA_SB_Lm3ESD_iEESH_SB_Lm4ESD_iEEiiiiiiiiiiiiiiii.has_indirect_call, 0
	.section	.AMDGPU.csdata,"",@progbits
; Kernel info:
; codeLenInByte = 1724
; TotalNumSgprs: 44
; NumVgprs: 19
; ScratchSize: 0
; MemoryBound: 0
; FloatMode: 240
; IeeeMode: 1
; LDSByteSize: 0 bytes/workgroup (compile time only)
; SGPRBlocks: 5
; VGPRBlocks: 4
; NumSGPRsForWavesPerEU: 44
; NumVGPRsForWavesPerEU: 19
; Occupancy: 10
; WaveLimiterHint : 0
; COMPUTE_PGM_RSRC2:SCRATCH_EN: 0
; COMPUTE_PGM_RSRC2:USER_SGPR: 6
; COMPUTE_PGM_RSRC2:TRAP_HANDLER: 0
; COMPUTE_PGM_RSRC2:TGID_X_EN: 1
; COMPUTE_PGM_RSRC2:TGID_Y_EN: 0
; COMPUTE_PGM_RSRC2:TGID_Z_EN: 0
; COMPUTE_PGM_RSRC2:TIDIG_COMP_CNT: 0
	.section	.text._ZN2at6native12_GLOBAL__N_135conv_depthwise2d_grad_weight_kernelIfjEEvN5torch10headeronly6detail27GenericPackedTensorAccessorINS5_14TensorAccessorIN3c108ArrayRefIlEEKT_Lm3ENS4_16DefaultPtrTraitsEiEENS_6detail16IndexBoundsCheckILm4EiEESC_Lm4ESD_iEESI_NS6_INS7_ISA_SB_Lm3ESD_iEESH_SB_Lm4ESD_iEEiiiiiiiiiiiiiiii,"axG",@progbits,_ZN2at6native12_GLOBAL__N_135conv_depthwise2d_grad_weight_kernelIfjEEvN5torch10headeronly6detail27GenericPackedTensorAccessorINS5_14TensorAccessorIN3c108ArrayRefIlEEKT_Lm3ENS4_16DefaultPtrTraitsEiEENS_6detail16IndexBoundsCheckILm4EiEESC_Lm4ESD_iEESI_NS6_INS7_ISA_SB_Lm3ESD_iEESH_SB_Lm4ESD_iEEiiiiiiiiiiiiiiii,comdat
	.globl	_ZN2at6native12_GLOBAL__N_135conv_depthwise2d_grad_weight_kernelIfjEEvN5torch10headeronly6detail27GenericPackedTensorAccessorINS5_14TensorAccessorIN3c108ArrayRefIlEEKT_Lm3ENS4_16DefaultPtrTraitsEiEENS_6detail16IndexBoundsCheckILm4EiEESC_Lm4ESD_iEESI_NS6_INS7_ISA_SB_Lm3ESD_iEESH_SB_Lm4ESD_iEEiiiiiiiiiiiiiiii ; -- Begin function _ZN2at6native12_GLOBAL__N_135conv_depthwise2d_grad_weight_kernelIfjEEvN5torch10headeronly6detail27GenericPackedTensorAccessorINS5_14TensorAccessorIN3c108ArrayRefIlEEKT_Lm3ENS4_16DefaultPtrTraitsEiEENS_6detail16IndexBoundsCheckILm4EiEESC_Lm4ESD_iEESI_NS6_INS7_ISA_SB_Lm3ESD_iEESH_SB_Lm4ESD_iEEiiiiiiiiiiiiiiii
	.p2align	8
	.type	_ZN2at6native12_GLOBAL__N_135conv_depthwise2d_grad_weight_kernelIfjEEvN5torch10headeronly6detail27GenericPackedTensorAccessorINS5_14TensorAccessorIN3c108ArrayRefIlEEKT_Lm3ENS4_16DefaultPtrTraitsEiEENS_6detail16IndexBoundsCheckILm4EiEESC_Lm4ESD_iEESI_NS6_INS7_ISA_SB_Lm3ESD_iEESH_SB_Lm4ESD_iEEiiiiiiiiiiiiiiii,@function
_ZN2at6native12_GLOBAL__N_135conv_depthwise2d_grad_weight_kernelIfjEEvN5torch10headeronly6detail27GenericPackedTensorAccessorINS5_14TensorAccessorIN3c108ArrayRefIlEEKT_Lm3ENS4_16DefaultPtrTraitsEiEENS_6detail16IndexBoundsCheckILm4EiEESC_Lm4ESD_iEESI_NS6_INS7_ISA_SB_Lm3ESD_iEESH_SB_Lm4ESD_iEEiiiiiiiiiiiiiiii: ; @_ZN2at6native12_GLOBAL__N_135conv_depthwise2d_grad_weight_kernelIfjEEvN5torch10headeronly6detail27GenericPackedTensorAccessorINS5_14TensorAccessorIN3c108ArrayRefIlEEKT_Lm3ENS4_16DefaultPtrTraitsEiEENS_6detail16IndexBoundsCheckILm4EiEESC_Lm4ESD_iEESI_NS6_INS7_ISA_SB_Lm3ESD_iEESH_SB_Lm4ESD_iEEiiiiiiiiiiiiiiii
; %bb.0:
	s_load_dwordx16 s[8:23], s[4:5], 0x78
	s_abs_i32 s2, s6
	s_ashr_i32 s1, s6, 31
	v_lshrrev_b32_e32 v11, 6, v0
	v_and_b32_e32 v10, 63, v0
	s_waitcnt lgkmcnt(0)
	s_abs_i32 s0, s16
	v_cvt_f32_u32_e32 v1, s0
	s_sub_i32 s7, 0, s0
	s_ashr_i32 s3, s16, 31
	s_xor_b32 s3, s1, s3
	v_rcp_iflag_f32_e32 v1, v1
	v_cmp_gt_i32_e32 vcc, s8, v11
	v_mov_b32_e32 v2, 0
	v_mul_f32_e32 v1, 0x4f7ffffe, v1
	v_cvt_u32_f32_e32 v1, v1
	v_readfirstlane_b32 s24, v1
	s_mul_i32 s7, s7, s24
	s_mul_hi_u32 s7, s24, s7
	s_add_i32 s24, s24, s7
	s_mul_hi_u32 s7, s2, s24
	s_mul_i32 s24, s7, s0
	s_sub_i32 s24, s2, s24
	s_add_i32 s25, s7, 1
	s_sub_i32 s26, s24, s0
	s_cmp_ge_u32 s24, s0
	s_cselect_b32 s7, s25, s7
	s_cselect_b32 s24, s26, s24
	s_add_i32 s25, s7, 1
	s_cmp_ge_u32 s24, s0
	s_cselect_b32 s0, s25, s7
	s_abs_i32 s7, s17
	v_cvt_f32_u32_e32 v1, s7
	s_xor_b32 s0, s0, s3
	s_sub_i32 s0, s0, s3
	s_mul_i32 s3, s0, s16
	v_rcp_iflag_f32_e32 v1, v1
	s_sub_i32 s24, 0, s7
	s_sub_i32 s30, s6, s3
	s_ashr_i32 s25, s0, 31
	v_mul_f32_e32 v1, 0x4f7ffffe, v1
	v_cvt_u32_f32_e32 v1, v1
	s_abs_i32 s0, s0
	s_mul_i32 s17, s17, s16
	v_readfirstlane_b32 s3, v1
	s_mul_i32 s24, s24, s3
	s_mul_hi_u32 s6, s3, s24
	s_add_i32 s3, s3, s6
	s_mul_hi_u32 s3, s0, s3
	s_mul_i32 s3, s3, s7
	s_sub_i32 s0, s0, s3
	s_sub_i32 s3, s0, s7
	s_cmp_ge_u32 s0, s7
	s_cselect_b32 s0, s3, s0
	s_sub_i32 s3, s0, s7
	s_cmp_ge_u32 s0, s7
	s_cselect_b32 s0, s3, s0
	s_abs_i32 s3, s17
	v_cvt_f32_u32_e32 v1, s3
	s_ashr_i32 s6, s17, 31
	s_xor_b32 s7, s0, s25
	s_xor_b32 s0, s1, s6
	v_rcp_iflag_f32_e32 v1, v1
	s_sub_i32 s1, 0, s3
	s_sub_i32 s31, s7, s25
	v_mul_f32_e32 v1, 0x4f7ffffe, v1
	v_cvt_u32_f32_e32 v1, v1
	v_readfirstlane_b32 s6, v1
	s_mul_i32 s1, s1, s6
	s_mul_hi_u32 s1, s6, s1
	s_add_i32 s6, s6, s1
	s_mul_hi_u32 s1, s2, s6
	s_mul_i32 s6, s1, s3
	s_sub_i32 s2, s2, s6
	s_add_i32 s7, s1, 1
	s_sub_i32 s6, s2, s3
	s_cmp_ge_u32 s2, s3
	s_cselect_b32 s1, s7, s1
	s_cselect_b32 s2, s6, s2
	s_add_i32 s6, s1, 1
	s_cmp_ge_u32 s2, s3
	s_cselect_b32 s1, s6, s1
	s_abs_i32 s2, s11
	v_cvt_f32_u32_e32 v1, s2
	s_load_dwordx2 s[6:7], s[4:5], 0x50
	s_load_dword s3, s[4:5], 0xc4
	s_xor_b32 s1, s1, s0
	v_rcp_iflag_f32_e32 v1, v1
	s_sub_i32 s33, s1, s0
	s_waitcnt lgkmcnt(0)
	s_bfe_u32 s34, s3, 0xa0006
	v_mul_f32_e32 v1, 0x4f7ffffe, v1
	v_cvt_u32_f32_e32 v1, v1
	v_readfirstlane_b32 s3, v1
	s_and_saveexec_b64 s[24:25], vcc
	s_cbranch_execz .LBB65_10
; %bb.1:
	s_sub_i32 s26, 0, s2
	v_cvt_f32_u32_e32 v1, s14
	s_mul_i32 s26, s26, s3
	s_mul_hi_u32 s26, s3, s26
	s_abs_i32 s36, s33
	s_add_i32 s3, s3, s26
	s_mul_hi_u32 s3, s36, s3
	v_rcp_iflag_f32_e32 v1, v1
	s_load_dwordx2 s[26:27], s[4:5], 0x0
	s_load_dwordx2 s[28:29], s[4:5], 0x28
	s_mul_i32 s5, s3, s2
	s_ashr_i32 s35, s33, 31
	s_ashr_i32 s11, s11, 31
	s_sub_i32 s5, s36, s5
	s_xor_b32 s4, s35, s11
	s_add_i32 s11, s3, 1
	s_sub_i32 s35, s5, s2
	s_cmp_ge_u32 s5, s2
	v_mul_f32_e32 v1, 0x4f7ffffe, v1
	s_cselect_b32 s3, s11, s3
	v_cvt_u32_f32_e32 v1, v1
	s_cselect_b32 s5, s35, s5
	s_add_i32 s11, s3, 1
	s_cmp_ge_u32 s5, s2
	s_cselect_b32 s2, s11, s3
	s_sub_i32 s36, 0, s14
	v_mul_lo_u32 v2, s36, v1
	v_mul_lo_u32 v7, s10, v11
	s_xor_b32 s2, s2, s4
	s_sub_i32 s35, s2, s4
	v_mul_hi_u32 v2, v1, v2
	s_mul_i32 s2, s30, s22
	s_sub_i32 s37, s2, s20
	s_mul_i32 s2, s31, s23
	v_add_u32_e32 v1, v1, v2
	v_mov_b32_e32 v2, 0
	s_sub_i32 s38, s2, s21
	v_mad_u64_u32 v[3:4], s[2:3], v1, v10, 0
	v_lshlrev_b64 v[5:6], 6, v[1:2]
	v_add_u32_e32 v1, s1, v7
	s_mul_i32 s15, s15, s14
	v_subrev_u32_e32 v1, s0, v1
	v_mul_lo_u32 v12, s15, v1
	s_mul_i32 s39, s15, s10
	v_cmp_gt_u32_e32 vcc, s15, v10
	s_mul_i32 s39, s39, s34
	s_mov_b64 s[10:11], 0
	s_branch .LBB65_4
.LBB65_2:                               ;   in Loop: Header=BB65_4 Depth=1
	s_or_b64 exec, exec, s[22:23]
.LBB65_3:                               ;   in Loop: Header=BB65_4 Depth=1
	s_or_b64 exec, exec, s[20:21]
	v_add_u32_e32 v11, s34, v11
	v_cmp_le_i32_e64 s[0:1], s8, v11
	s_or_b64 s[10:11], s[0:1], s[10:11]
	v_add_u32_e32 v12, s39, v12
	s_andn2_b64 exec, exec, s[10:11]
	s_cbranch_execz .LBB65_9
.LBB65_4:                               ; =>This Loop Header: Depth=1
                                        ;     Child Loop BB65_7 Depth 2
	s_and_saveexec_b64 s[20:21], vcc
	s_cbranch_execz .LBB65_3
; %bb.5:                                ;   in Loop: Header=BB65_4 Depth=1
	v_mul_lo_u32 v1, v11, s9
	v_mov_b32_e32 v8, v4
	s_mov_b64 s[22:23], 0
	v_mov_b32_e32 v7, v3
	v_add_u32_e32 v1, s35, v1
	v_mul_lo_u32 v13, v1, s13
	v_mov_b32_e32 v1, v10
	s_branch .LBB65_7
.LBB65_6:                               ;   in Loop: Header=BB65_7 Depth=2
	s_or_b64 exec, exec, s[2:3]
	v_add_u32_e32 v1, 64, v1
	v_cmp_le_u32_e64 s[0:1], s15, v1
	s_or_b64 s[22:23], s[0:1], s[22:23]
	v_add_co_u32_e64 v7, s[0:1], v7, v5
	v_addc_co_u32_e64 v8, s[0:1], v8, v6, s[0:1]
	s_andn2_b64 exec, exec, s[22:23]
	s_cbranch_execz .LBB65_2
.LBB65_7:                               ;   Parent Loop BB65_4 Depth=1
                                        ; =>  This Inner Loop Header: Depth=2
	v_not_b32_e32 v9, v8
	v_mad_u64_u32 v[14:15], s[0:1], s36, v8, v[1:2]
	v_mad_u64_u32 v[15:16], s[0:1], s14, v9, v[1:2]
	v_add_u32_e32 v9, 1, v8
	v_cmp_le_u32_e64 s[0:1], s14, v14
	v_cndmask_b32_e64 v9, v8, v9, s[0:1]
	v_cndmask_b32_e64 v14, v14, v15, s[0:1]
	v_add_u32_e32 v15, 1, v9
	v_cmp_le_u32_e64 s[0:1], s14, v14
	v_cndmask_b32_e64 v9, v9, v15, s[0:1]
	v_mad_u64_u32 v[14:15], s[0:1], s36, v9, v[1:2]
	v_mul_lo_u32 v15, v9, s19
	v_mul_lo_u32 v14, v14, s18
	v_add_u32_e32 v9, s37, v14
	v_add_u32_e32 v14, s38, v15
	v_or_b32_e32 v15, v9, v14
	v_cmp_gt_i32_e64 s[2:3], s12, v9
	v_cmp_gt_i32_e64 s[4:5], s13, v14
	v_cmp_lt_i32_e64 s[0:1], -1, v15
	s_and_b64 s[2:3], s[2:3], s[4:5]
	s_and_b64 s[0:1], s[2:3], s[0:1]
	s_and_saveexec_b64 s[2:3], s[0:1]
	s_cbranch_execz .LBB65_6
; %bb.8:                                ;   in Loop: Header=BB65_7 Depth=2
	v_add_u32_e32 v14, v14, v13
	v_mad_u64_u32 v[14:15], s[0:1], v14, s12, v[9:10]
	v_add_u32_e32 v16, v12, v1
	s_waitcnt lgkmcnt(0)
	v_mov_b32_e32 v9, s29
	v_ashrrev_i32_e32 v15, 31, v14
	v_lshlrev_b64 v[14:15], 2, v[14:15]
	v_ashrrev_i32_e32 v17, 31, v16
	v_add_co_u32_e64 v14, s[0:1], s28, v14
	v_addc_co_u32_e64 v15, s[0:1], v9, v15, s[0:1]
	global_load_dword v9, v[14:15], off
	v_lshlrev_b64 v[14:15], 2, v[16:17]
	v_mov_b32_e32 v16, s27
	v_add_co_u32_e64 v14, s[0:1], s26, v14
	v_addc_co_u32_e64 v15, s[0:1], v16, v15, s[0:1]
	global_load_dword v14, v[14:15], off
	s_waitcnt vmcnt(0)
	v_fmac_f32_e32 v2, v9, v14
	s_branch .LBB65_6
.LBB65_9:
	s_or_b64 exec, exec, s[10:11]
.LBB65_10:
	s_or_b64 exec, exec, s[24:25]
	v_mbcnt_lo_u32_b32 v1, -1, 0
	v_mbcnt_hi_u32_b32 v6, -1, v1
	v_mov_b32_e32 v1, 0x80
	v_lshl_or_b32 v1, v6, 2, v1
	ds_bpermute_b32 v3, v1, v2
	v_and_b32_e32 v7, 63, v6
	v_cmp_gt_u32_e32 vcc, 48, v7
	v_cndmask_b32_e64 v4, 0, 16, vcc
	v_cmp_gt_u32_e32 vcc, 56, v7
	s_waitcnt lgkmcnt(0)
	v_add_f32_e32 v5, v2, v3
	v_add_lshl_u32 v2, v4, v6, 2
	ds_bpermute_b32 v4, v2, v5
	v_cndmask_b32_e64 v3, 0, 8, vcc
	v_add_lshl_u32 v3, v3, v6, 2
	v_cmp_gt_u32_e32 vcc, 60, v7
	s_waitcnt lgkmcnt(0)
	v_add_f32_e32 v5, v5, v4
	ds_bpermute_b32 v8, v3, v5
	v_cndmask_b32_e64 v4, 0, 4, vcc
	v_add_lshl_u32 v4, v4, v6, 2
	v_cmp_gt_u32_e32 vcc, 62, v7
	s_waitcnt lgkmcnt(0)
	s_barrier
	v_add_f32_e32 v8, v5, v8
	ds_bpermute_b32 v9, v4, v8
	v_cndmask_b32_e64 v5, 0, 2, vcc
	v_add_lshl_u32 v5, v5, v6, 2
	v_cmp_ne_u32_e32 vcc, 63, v7
	v_addc_co_u32_e32 v6, vcc, 0, v6, vcc
	s_waitcnt lgkmcnt(0)
	v_add_f32_e32 v8, v8, v9
	ds_bpermute_b32 v9, v5, v8
	v_lshlrev_b32_e32 v6, 2, v6
	v_cmp_eq_u32_e32 vcc, 0, v10
	s_waitcnt lgkmcnt(0)
	v_add_f32_e32 v7, v8, v9
	ds_bpermute_b32 v8, v6, v7
	s_and_saveexec_b64 s[0:1], vcc
	s_cbranch_execz .LBB65_12
; %bb.11:
	s_waitcnt lgkmcnt(0)
	v_add_f32_e32 v7, v7, v8
	v_lshrrev_b32_e32 v8, 4, v0
	v_add_u32_e32 v8, 0, v8
	ds_write_b32 v8, v7
.LBB65_12:
	s_or_b64 exec, exec, s[0:1]
	v_cmp_gt_u32_e32 vcc, s34, v0
	v_mov_b32_e32 v7, 0
	s_waitcnt lgkmcnt(0)
	s_barrier
	s_and_saveexec_b64 s[0:1], vcc
	s_cbranch_execnz .LBB65_16
; %bb.13:
	s_or_b64 exec, exec, s[0:1]
	v_cmp_gt_u32_e32 vcc, 64, v0
	s_and_saveexec_b64 s[0:1], vcc
	s_cbranch_execnz .LBB65_17
.LBB65_14:
	s_or_b64 exec, exec, s[0:1]
	v_cmp_eq_u32_e32 vcc, 0, v0
	s_and_saveexec_b64 s[0:1], vcc
	s_cbranch_execnz .LBB65_18
.LBB65_15:
	s_endpgm
.LBB65_16:
	v_lshl_add_u32 v7, v10, 2, 0
	ds_read_b32 v7, v7
	s_or_b64 exec, exec, s[0:1]
	v_cmp_gt_u32_e32 vcc, 64, v0
	s_and_saveexec_b64 s[0:1], vcc
	s_cbranch_execz .LBB65_14
.LBB65_17:
	s_waitcnt lgkmcnt(0)
	ds_bpermute_b32 v1, v1, v7
	s_waitcnt lgkmcnt(0)
	v_add_f32_e32 v1, v7, v1
	ds_bpermute_b32 v2, v2, v1
	s_waitcnt lgkmcnt(0)
	v_add_f32_e32 v1, v1, v2
	;; [unrolled: 3-line block ×6, first 2 shown]
	s_or_b64 exec, exec, s[0:1]
	v_cmp_eq_u32_e32 vcc, 0, v0
	s_and_saveexec_b64 s[0:1], vcc
	s_cbranch_execz .LBB65_15
.LBB65_18:
	s_mul_i32 s0, s31, s16
	s_add_i32 s0, s0, s30
	s_mul_i32 s33, s33, s17
	s_add_i32 s0, s0, s33
	s_ashr_i32 s1, s0, 31
	s_lshl_b64 s[0:1], s[0:1], 2
	s_add_u32 s0, s6, s0
	s_addc_u32 s1, s7, s1
	v_mov_b32_e32 v0, 0
	s_waitcnt lgkmcnt(0)
	global_store_dword v0, v7, s[0:1]
	s_endpgm
	.section	.rodata,"a",@progbits
	.p2align	6, 0x0
	.amdhsa_kernel _ZN2at6native12_GLOBAL__N_135conv_depthwise2d_grad_weight_kernelIfjEEvN5torch10headeronly6detail27GenericPackedTensorAccessorINS5_14TensorAccessorIN3c108ArrayRefIlEEKT_Lm3ENS4_16DefaultPtrTraitsEiEENS_6detail16IndexBoundsCheckILm4EiEESC_Lm4ESD_iEESI_NS6_INS7_ISA_SB_Lm3ESD_iEESH_SB_Lm4ESD_iEEiiiiiiiiiiiiiiii
		.amdhsa_group_segment_fixed_size 0
		.amdhsa_private_segment_fixed_size 0
		.amdhsa_kernarg_size 440
		.amdhsa_user_sgpr_count 6
		.amdhsa_user_sgpr_private_segment_buffer 1
		.amdhsa_user_sgpr_dispatch_ptr 0
		.amdhsa_user_sgpr_queue_ptr 0
		.amdhsa_user_sgpr_kernarg_segment_ptr 1
		.amdhsa_user_sgpr_dispatch_id 0
		.amdhsa_user_sgpr_flat_scratch_init 0
		.amdhsa_user_sgpr_private_segment_size 0
		.amdhsa_uses_dynamic_stack 0
		.amdhsa_system_sgpr_private_segment_wavefront_offset 0
		.amdhsa_system_sgpr_workgroup_id_x 1
		.amdhsa_system_sgpr_workgroup_id_y 0
		.amdhsa_system_sgpr_workgroup_id_z 0
		.amdhsa_system_sgpr_workgroup_info 0
		.amdhsa_system_vgpr_workitem_id 0
		.amdhsa_next_free_vgpr 18
		.amdhsa_next_free_sgpr 40
		.amdhsa_reserve_vcc 1
		.amdhsa_reserve_flat_scratch 0
		.amdhsa_float_round_mode_32 0
		.amdhsa_float_round_mode_16_64 0
		.amdhsa_float_denorm_mode_32 3
		.amdhsa_float_denorm_mode_16_64 3
		.amdhsa_dx10_clamp 1
		.amdhsa_ieee_mode 1
		.amdhsa_fp16_overflow 0
		.amdhsa_exception_fp_ieee_invalid_op 0
		.amdhsa_exception_fp_denorm_src 0
		.amdhsa_exception_fp_ieee_div_zero 0
		.amdhsa_exception_fp_ieee_overflow 0
		.amdhsa_exception_fp_ieee_underflow 0
		.amdhsa_exception_fp_ieee_inexact 0
		.amdhsa_exception_int_div_zero 0
	.end_amdhsa_kernel
	.section	.text._ZN2at6native12_GLOBAL__N_135conv_depthwise2d_grad_weight_kernelIfjEEvN5torch10headeronly6detail27GenericPackedTensorAccessorINS5_14TensorAccessorIN3c108ArrayRefIlEEKT_Lm3ENS4_16DefaultPtrTraitsEiEENS_6detail16IndexBoundsCheckILm4EiEESC_Lm4ESD_iEESI_NS6_INS7_ISA_SB_Lm3ESD_iEESH_SB_Lm4ESD_iEEiiiiiiiiiiiiiiii,"axG",@progbits,_ZN2at6native12_GLOBAL__N_135conv_depthwise2d_grad_weight_kernelIfjEEvN5torch10headeronly6detail27GenericPackedTensorAccessorINS5_14TensorAccessorIN3c108ArrayRefIlEEKT_Lm3ENS4_16DefaultPtrTraitsEiEENS_6detail16IndexBoundsCheckILm4EiEESC_Lm4ESD_iEESI_NS6_INS7_ISA_SB_Lm3ESD_iEESH_SB_Lm4ESD_iEEiiiiiiiiiiiiiiii,comdat
.Lfunc_end65:
	.size	_ZN2at6native12_GLOBAL__N_135conv_depthwise2d_grad_weight_kernelIfjEEvN5torch10headeronly6detail27GenericPackedTensorAccessorINS5_14TensorAccessorIN3c108ArrayRefIlEEKT_Lm3ENS4_16DefaultPtrTraitsEiEENS_6detail16IndexBoundsCheckILm4EiEESC_Lm4ESD_iEESI_NS6_INS7_ISA_SB_Lm3ESD_iEESH_SB_Lm4ESD_iEEiiiiiiiiiiiiiiii, .Lfunc_end65-_ZN2at6native12_GLOBAL__N_135conv_depthwise2d_grad_weight_kernelIfjEEvN5torch10headeronly6detail27GenericPackedTensorAccessorINS5_14TensorAccessorIN3c108ArrayRefIlEEKT_Lm3ENS4_16DefaultPtrTraitsEiEENS_6detail16IndexBoundsCheckILm4EiEESC_Lm4ESD_iEESI_NS6_INS7_ISA_SB_Lm3ESD_iEESH_SB_Lm4ESD_iEEiiiiiiiiiiiiiiii
                                        ; -- End function
	.set _ZN2at6native12_GLOBAL__N_135conv_depthwise2d_grad_weight_kernelIfjEEvN5torch10headeronly6detail27GenericPackedTensorAccessorINS5_14TensorAccessorIN3c108ArrayRefIlEEKT_Lm3ENS4_16DefaultPtrTraitsEiEENS_6detail16IndexBoundsCheckILm4EiEESC_Lm4ESD_iEESI_NS6_INS7_ISA_SB_Lm3ESD_iEESH_SB_Lm4ESD_iEEiiiiiiiiiiiiiiii.num_vgpr, 18
	.set _ZN2at6native12_GLOBAL__N_135conv_depthwise2d_grad_weight_kernelIfjEEvN5torch10headeronly6detail27GenericPackedTensorAccessorINS5_14TensorAccessorIN3c108ArrayRefIlEEKT_Lm3ENS4_16DefaultPtrTraitsEiEENS_6detail16IndexBoundsCheckILm4EiEESC_Lm4ESD_iEESI_NS6_INS7_ISA_SB_Lm3ESD_iEESH_SB_Lm4ESD_iEEiiiiiiiiiiiiiiii.num_agpr, 0
	.set _ZN2at6native12_GLOBAL__N_135conv_depthwise2d_grad_weight_kernelIfjEEvN5torch10headeronly6detail27GenericPackedTensorAccessorINS5_14TensorAccessorIN3c108ArrayRefIlEEKT_Lm3ENS4_16DefaultPtrTraitsEiEENS_6detail16IndexBoundsCheckILm4EiEESC_Lm4ESD_iEESI_NS6_INS7_ISA_SB_Lm3ESD_iEESH_SB_Lm4ESD_iEEiiiiiiiiiiiiiiii.numbered_sgpr, 40
	.set _ZN2at6native12_GLOBAL__N_135conv_depthwise2d_grad_weight_kernelIfjEEvN5torch10headeronly6detail27GenericPackedTensorAccessorINS5_14TensorAccessorIN3c108ArrayRefIlEEKT_Lm3ENS4_16DefaultPtrTraitsEiEENS_6detail16IndexBoundsCheckILm4EiEESC_Lm4ESD_iEESI_NS6_INS7_ISA_SB_Lm3ESD_iEESH_SB_Lm4ESD_iEEiiiiiiiiiiiiiiii.num_named_barrier, 0
	.set _ZN2at6native12_GLOBAL__N_135conv_depthwise2d_grad_weight_kernelIfjEEvN5torch10headeronly6detail27GenericPackedTensorAccessorINS5_14TensorAccessorIN3c108ArrayRefIlEEKT_Lm3ENS4_16DefaultPtrTraitsEiEENS_6detail16IndexBoundsCheckILm4EiEESC_Lm4ESD_iEESI_NS6_INS7_ISA_SB_Lm3ESD_iEESH_SB_Lm4ESD_iEEiiiiiiiiiiiiiiii.private_seg_size, 0
	.set _ZN2at6native12_GLOBAL__N_135conv_depthwise2d_grad_weight_kernelIfjEEvN5torch10headeronly6detail27GenericPackedTensorAccessorINS5_14TensorAccessorIN3c108ArrayRefIlEEKT_Lm3ENS4_16DefaultPtrTraitsEiEENS_6detail16IndexBoundsCheckILm4EiEESC_Lm4ESD_iEESI_NS6_INS7_ISA_SB_Lm3ESD_iEESH_SB_Lm4ESD_iEEiiiiiiiiiiiiiiii.uses_vcc, 1
	.set _ZN2at6native12_GLOBAL__N_135conv_depthwise2d_grad_weight_kernelIfjEEvN5torch10headeronly6detail27GenericPackedTensorAccessorINS5_14TensorAccessorIN3c108ArrayRefIlEEKT_Lm3ENS4_16DefaultPtrTraitsEiEENS_6detail16IndexBoundsCheckILm4EiEESC_Lm4ESD_iEESI_NS6_INS7_ISA_SB_Lm3ESD_iEESH_SB_Lm4ESD_iEEiiiiiiiiiiiiiiii.uses_flat_scratch, 0
	.set _ZN2at6native12_GLOBAL__N_135conv_depthwise2d_grad_weight_kernelIfjEEvN5torch10headeronly6detail27GenericPackedTensorAccessorINS5_14TensorAccessorIN3c108ArrayRefIlEEKT_Lm3ENS4_16DefaultPtrTraitsEiEENS_6detail16IndexBoundsCheckILm4EiEESC_Lm4ESD_iEESI_NS6_INS7_ISA_SB_Lm3ESD_iEESH_SB_Lm4ESD_iEEiiiiiiiiiiiiiiii.has_dyn_sized_stack, 0
	.set _ZN2at6native12_GLOBAL__N_135conv_depthwise2d_grad_weight_kernelIfjEEvN5torch10headeronly6detail27GenericPackedTensorAccessorINS5_14TensorAccessorIN3c108ArrayRefIlEEKT_Lm3ENS4_16DefaultPtrTraitsEiEENS_6detail16IndexBoundsCheckILm4EiEESC_Lm4ESD_iEESI_NS6_INS7_ISA_SB_Lm3ESD_iEESH_SB_Lm4ESD_iEEiiiiiiiiiiiiiiii.has_recursion, 0
	.set _ZN2at6native12_GLOBAL__N_135conv_depthwise2d_grad_weight_kernelIfjEEvN5torch10headeronly6detail27GenericPackedTensorAccessorINS5_14TensorAccessorIN3c108ArrayRefIlEEKT_Lm3ENS4_16DefaultPtrTraitsEiEENS_6detail16IndexBoundsCheckILm4EiEESC_Lm4ESD_iEESI_NS6_INS7_ISA_SB_Lm3ESD_iEESH_SB_Lm4ESD_iEEiiiiiiiiiiiiiiii.has_indirect_call, 0
	.section	.AMDGPU.csdata,"",@progbits
; Kernel info:
; codeLenInByte = 1556
; TotalNumSgprs: 44
; NumVgprs: 18
; ScratchSize: 0
; MemoryBound: 0
; FloatMode: 240
; IeeeMode: 1
; LDSByteSize: 0 bytes/workgroup (compile time only)
; SGPRBlocks: 5
; VGPRBlocks: 4
; NumSGPRsForWavesPerEU: 44
; NumVGPRsForWavesPerEU: 18
; Occupancy: 10
; WaveLimiterHint : 0
; COMPUTE_PGM_RSRC2:SCRATCH_EN: 0
; COMPUTE_PGM_RSRC2:USER_SGPR: 6
; COMPUTE_PGM_RSRC2:TRAP_HANDLER: 0
; COMPUTE_PGM_RSRC2:TGID_X_EN: 1
; COMPUTE_PGM_RSRC2:TGID_Y_EN: 0
; COMPUTE_PGM_RSRC2:TGID_Z_EN: 0
; COMPUTE_PGM_RSRC2:TIDIG_COMP_CNT: 0
	.section	.text._ZN2at6native12_GLOBAL__N_135conv_depthwise2d_grad_weight_kernelIN3c104HalfEjEEvN5torch10headeronly6detail27GenericPackedTensorAccessorINS7_14TensorAccessorINS3_8ArrayRefIlEEKT_Lm3ENS6_16DefaultPtrTraitsEiEENS_6detail16IndexBoundsCheckILm4EiEESD_Lm4ESE_iEESJ_NS8_INS9_ISB_SC_Lm3ESE_iEESI_SC_Lm4ESE_iEEiiiiiiiiiiiiiiii,"axG",@progbits,_ZN2at6native12_GLOBAL__N_135conv_depthwise2d_grad_weight_kernelIN3c104HalfEjEEvN5torch10headeronly6detail27GenericPackedTensorAccessorINS7_14TensorAccessorINS3_8ArrayRefIlEEKT_Lm3ENS6_16DefaultPtrTraitsEiEENS_6detail16IndexBoundsCheckILm4EiEESD_Lm4ESE_iEESJ_NS8_INS9_ISB_SC_Lm3ESE_iEESI_SC_Lm4ESE_iEEiiiiiiiiiiiiiiii,comdat
	.globl	_ZN2at6native12_GLOBAL__N_135conv_depthwise2d_grad_weight_kernelIN3c104HalfEjEEvN5torch10headeronly6detail27GenericPackedTensorAccessorINS7_14TensorAccessorINS3_8ArrayRefIlEEKT_Lm3ENS6_16DefaultPtrTraitsEiEENS_6detail16IndexBoundsCheckILm4EiEESD_Lm4ESE_iEESJ_NS8_INS9_ISB_SC_Lm3ESE_iEESI_SC_Lm4ESE_iEEiiiiiiiiiiiiiiii ; -- Begin function _ZN2at6native12_GLOBAL__N_135conv_depthwise2d_grad_weight_kernelIN3c104HalfEjEEvN5torch10headeronly6detail27GenericPackedTensorAccessorINS7_14TensorAccessorINS3_8ArrayRefIlEEKT_Lm3ENS6_16DefaultPtrTraitsEiEENS_6detail16IndexBoundsCheckILm4EiEESD_Lm4ESE_iEESJ_NS8_INS9_ISB_SC_Lm3ESE_iEESI_SC_Lm4ESE_iEEiiiiiiiiiiiiiiii
	.p2align	8
	.type	_ZN2at6native12_GLOBAL__N_135conv_depthwise2d_grad_weight_kernelIN3c104HalfEjEEvN5torch10headeronly6detail27GenericPackedTensorAccessorINS7_14TensorAccessorINS3_8ArrayRefIlEEKT_Lm3ENS6_16DefaultPtrTraitsEiEENS_6detail16IndexBoundsCheckILm4EiEESD_Lm4ESE_iEESJ_NS8_INS9_ISB_SC_Lm3ESE_iEESI_SC_Lm4ESE_iEEiiiiiiiiiiiiiiii,@function
_ZN2at6native12_GLOBAL__N_135conv_depthwise2d_grad_weight_kernelIN3c104HalfEjEEvN5torch10headeronly6detail27GenericPackedTensorAccessorINS7_14TensorAccessorINS3_8ArrayRefIlEEKT_Lm3ENS6_16DefaultPtrTraitsEiEENS_6detail16IndexBoundsCheckILm4EiEESD_Lm4ESE_iEESJ_NS8_INS9_ISB_SC_Lm3ESE_iEESI_SC_Lm4ESE_iEEiiiiiiiiiiiiiiii: ; @_ZN2at6native12_GLOBAL__N_135conv_depthwise2d_grad_weight_kernelIN3c104HalfEjEEvN5torch10headeronly6detail27GenericPackedTensorAccessorINS7_14TensorAccessorINS3_8ArrayRefIlEEKT_Lm3ENS6_16DefaultPtrTraitsEiEENS_6detail16IndexBoundsCheckILm4EiEESD_Lm4ESE_iEESJ_NS8_INS9_ISB_SC_Lm3ESE_iEESI_SC_Lm4ESE_iEEiiiiiiiiiiiiiiii
; %bb.0:
	s_load_dwordx16 s[8:23], s[4:5], 0x78
	s_abs_i32 s2, s6
	s_ashr_i32 s1, s6, 31
	v_lshrrev_b32_e32 v11, 6, v0
	v_and_b32_e32 v10, 63, v0
	s_waitcnt lgkmcnt(0)
	s_abs_i32 s0, s16
	v_cvt_f32_u32_e32 v1, s0
	s_sub_i32 s7, 0, s0
	s_ashr_i32 s3, s16, 31
	s_xor_b32 s3, s1, s3
	v_rcp_iflag_f32_e32 v1, v1
	v_cmp_gt_i32_e32 vcc, s8, v11
	v_mov_b32_e32 v2, 0
	v_mul_f32_e32 v1, 0x4f7ffffe, v1
	v_cvt_u32_f32_e32 v1, v1
	v_readfirstlane_b32 s24, v1
	s_mul_i32 s7, s7, s24
	s_mul_hi_u32 s7, s24, s7
	s_add_i32 s24, s24, s7
	s_mul_hi_u32 s7, s2, s24
	s_mul_i32 s24, s7, s0
	s_sub_i32 s24, s2, s24
	s_add_i32 s25, s7, 1
	s_sub_i32 s26, s24, s0
	s_cmp_ge_u32 s24, s0
	s_cselect_b32 s7, s25, s7
	s_cselect_b32 s24, s26, s24
	s_add_i32 s25, s7, 1
	s_cmp_ge_u32 s24, s0
	s_cselect_b32 s0, s25, s7
	s_abs_i32 s7, s17
	v_cvt_f32_u32_e32 v1, s7
	s_xor_b32 s0, s0, s3
	s_sub_i32 s0, s0, s3
	s_mul_i32 s3, s0, s16
	v_rcp_iflag_f32_e32 v1, v1
	s_sub_i32 s24, 0, s7
	s_sub_i32 s30, s6, s3
	s_ashr_i32 s25, s0, 31
	v_mul_f32_e32 v1, 0x4f7ffffe, v1
	v_cvt_u32_f32_e32 v1, v1
	s_abs_i32 s0, s0
	s_mul_i32 s17, s17, s16
	v_readfirstlane_b32 s3, v1
	s_mul_i32 s24, s24, s3
	s_mul_hi_u32 s6, s3, s24
	s_add_i32 s3, s3, s6
	s_mul_hi_u32 s3, s0, s3
	s_mul_i32 s3, s3, s7
	s_sub_i32 s0, s0, s3
	s_sub_i32 s3, s0, s7
	s_cmp_ge_u32 s0, s7
	s_cselect_b32 s0, s3, s0
	s_sub_i32 s3, s0, s7
	s_cmp_ge_u32 s0, s7
	s_cselect_b32 s0, s3, s0
	s_abs_i32 s3, s17
	v_cvt_f32_u32_e32 v1, s3
	s_ashr_i32 s6, s17, 31
	s_xor_b32 s7, s0, s25
	s_xor_b32 s0, s1, s6
	v_rcp_iflag_f32_e32 v1, v1
	s_sub_i32 s1, 0, s3
	s_sub_i32 s31, s7, s25
	v_mul_f32_e32 v1, 0x4f7ffffe, v1
	v_cvt_u32_f32_e32 v1, v1
	v_readfirstlane_b32 s6, v1
	s_mul_i32 s1, s1, s6
	s_mul_hi_u32 s1, s6, s1
	s_add_i32 s6, s6, s1
	s_mul_hi_u32 s1, s2, s6
	s_mul_i32 s6, s1, s3
	s_sub_i32 s2, s2, s6
	s_add_i32 s7, s1, 1
	s_sub_i32 s6, s2, s3
	s_cmp_ge_u32 s2, s3
	s_cselect_b32 s1, s7, s1
	s_cselect_b32 s2, s6, s2
	s_add_i32 s6, s1, 1
	s_cmp_ge_u32 s2, s3
	s_cselect_b32 s1, s6, s1
	s_abs_i32 s2, s11
	v_cvt_f32_u32_e32 v1, s2
	s_load_dwordx2 s[6:7], s[4:5], 0x50
	s_load_dword s3, s[4:5], 0xc4
	s_xor_b32 s1, s1, s0
	v_rcp_iflag_f32_e32 v1, v1
	s_sub_i32 s33, s1, s0
	s_waitcnt lgkmcnt(0)
	s_bfe_u32 s34, s3, 0xa0006
	v_mul_f32_e32 v1, 0x4f7ffffe, v1
	v_cvt_u32_f32_e32 v1, v1
	v_readfirstlane_b32 s3, v1
	s_and_saveexec_b64 s[24:25], vcc
	s_cbranch_execz .LBB66_10
; %bb.1:
	s_sub_i32 s26, 0, s2
	v_cvt_f32_u32_e32 v1, s14
	s_mul_i32 s26, s26, s3
	s_mul_hi_u32 s26, s3, s26
	s_abs_i32 s36, s33
	s_add_i32 s3, s3, s26
	s_mul_hi_u32 s3, s36, s3
	v_rcp_iflag_f32_e32 v1, v1
	s_load_dwordx2 s[26:27], s[4:5], 0x0
	s_load_dwordx2 s[28:29], s[4:5], 0x28
	s_mul_i32 s5, s3, s2
	s_ashr_i32 s35, s33, 31
	s_ashr_i32 s11, s11, 31
	s_sub_i32 s5, s36, s5
	s_xor_b32 s4, s35, s11
	s_add_i32 s11, s3, 1
	s_sub_i32 s35, s5, s2
	s_cmp_ge_u32 s5, s2
	v_mul_f32_e32 v1, 0x4f7ffffe, v1
	s_cselect_b32 s3, s11, s3
	v_cvt_u32_f32_e32 v1, v1
	s_cselect_b32 s5, s35, s5
	s_add_i32 s11, s3, 1
	s_cmp_ge_u32 s5, s2
	s_cselect_b32 s2, s11, s3
	s_sub_i32 s36, 0, s14
	v_mul_lo_u32 v2, s36, v1
	v_mul_lo_u32 v7, s10, v11
	s_xor_b32 s2, s2, s4
	s_sub_i32 s35, s2, s4
	v_mul_hi_u32 v2, v1, v2
	s_mul_i32 s2, s30, s22
	s_sub_i32 s37, s2, s20
	s_mul_i32 s2, s31, s23
	v_add_u32_e32 v1, v1, v2
	v_mov_b32_e32 v2, 0
	s_sub_i32 s38, s2, s21
	v_mad_u64_u32 v[3:4], s[2:3], v1, v10, 0
	v_lshlrev_b64 v[5:6], 6, v[1:2]
	v_add_u32_e32 v1, s1, v7
	s_mul_i32 s15, s15, s14
	v_subrev_u32_e32 v1, s0, v1
	v_mul_lo_u32 v12, s15, v1
	s_mul_i32 s39, s15, s10
	v_cmp_gt_u32_e32 vcc, s15, v10
	s_mul_i32 s39, s39, s34
	s_mov_b64 s[10:11], 0
	s_branch .LBB66_4
.LBB66_2:                               ;   in Loop: Header=BB66_4 Depth=1
	s_or_b64 exec, exec, s[22:23]
.LBB66_3:                               ;   in Loop: Header=BB66_4 Depth=1
	s_or_b64 exec, exec, s[20:21]
	v_add_u32_e32 v11, s34, v11
	v_cmp_le_i32_e64 s[0:1], s8, v11
	s_or_b64 s[10:11], s[0:1], s[10:11]
	v_add_u32_e32 v12, s39, v12
	s_andn2_b64 exec, exec, s[10:11]
	s_cbranch_execz .LBB66_9
.LBB66_4:                               ; =>This Loop Header: Depth=1
                                        ;     Child Loop BB66_7 Depth 2
	s_and_saveexec_b64 s[20:21], vcc
	s_cbranch_execz .LBB66_3
; %bb.5:                                ;   in Loop: Header=BB66_4 Depth=1
	v_mul_lo_u32 v1, v11, s9
	v_mov_b32_e32 v8, v4
	s_mov_b64 s[22:23], 0
	v_mov_b32_e32 v7, v3
	v_add_u32_e32 v1, s35, v1
	v_mul_lo_u32 v13, v1, s13
	v_mov_b32_e32 v1, v10
	s_branch .LBB66_7
.LBB66_6:                               ;   in Loop: Header=BB66_7 Depth=2
	s_or_b64 exec, exec, s[2:3]
	v_add_u32_e32 v1, 64, v1
	v_cmp_le_u32_e64 s[0:1], s15, v1
	s_or_b64 s[22:23], s[0:1], s[22:23]
	v_add_co_u32_e64 v7, s[0:1], v7, v5
	v_addc_co_u32_e64 v8, s[0:1], v8, v6, s[0:1]
	s_andn2_b64 exec, exec, s[22:23]
	s_cbranch_execz .LBB66_2
.LBB66_7:                               ;   Parent Loop BB66_4 Depth=1
                                        ; =>  This Inner Loop Header: Depth=2
	v_not_b32_e32 v9, v8
	v_mad_u64_u32 v[14:15], s[0:1], s36, v8, v[1:2]
	v_mad_u64_u32 v[15:16], s[0:1], s14, v9, v[1:2]
	v_add_u32_e32 v9, 1, v8
	v_cmp_le_u32_e64 s[0:1], s14, v14
	v_cndmask_b32_e64 v9, v8, v9, s[0:1]
	v_cndmask_b32_e64 v14, v14, v15, s[0:1]
	v_add_u32_e32 v15, 1, v9
	v_cmp_le_u32_e64 s[0:1], s14, v14
	v_cndmask_b32_e64 v9, v9, v15, s[0:1]
	v_mad_u64_u32 v[14:15], s[0:1], s36, v9, v[1:2]
	v_mul_lo_u32 v15, v9, s19
	v_mul_lo_u32 v14, v14, s18
	v_add_u32_e32 v9, s37, v14
	v_add_u32_e32 v14, s38, v15
	v_or_b32_e32 v15, v9, v14
	v_cmp_gt_i32_e64 s[2:3], s12, v9
	v_cmp_gt_i32_e64 s[4:5], s13, v14
	v_cmp_lt_i32_e64 s[0:1], -1, v15
	s_and_b64 s[2:3], s[2:3], s[4:5]
	s_and_b64 s[0:1], s[2:3], s[0:1]
	s_and_saveexec_b64 s[2:3], s[0:1]
	s_cbranch_execz .LBB66_6
; %bb.8:                                ;   in Loop: Header=BB66_7 Depth=2
	v_add_u32_e32 v14, v14, v13
	v_mad_u64_u32 v[14:15], s[0:1], v14, s12, v[9:10]
	v_add_u32_e32 v16, v12, v1
	s_waitcnt lgkmcnt(0)
	v_mov_b32_e32 v9, s29
	v_ashrrev_i32_e32 v15, 31, v14
	v_lshlrev_b64 v[14:15], 1, v[14:15]
	v_ashrrev_i32_e32 v17, 31, v16
	v_add_co_u32_e64 v14, s[0:1], s28, v14
	v_addc_co_u32_e64 v15, s[0:1], v9, v15, s[0:1]
	global_load_ushort v9, v[14:15], off
	v_lshlrev_b64 v[14:15], 1, v[16:17]
	v_mov_b32_e32 v16, s27
	v_add_co_u32_e64 v14, s[0:1], s26, v14
	v_addc_co_u32_e64 v15, s[0:1], v16, v15, s[0:1]
	global_load_ushort v14, v[14:15], off
	s_waitcnt vmcnt(0)
	v_fma_mix_f32 v2, v9, v14, v2 op_sel_hi:[1,1,0]
	s_branch .LBB66_6
.LBB66_9:
	s_or_b64 exec, exec, s[10:11]
.LBB66_10:
	s_or_b64 exec, exec, s[24:25]
	v_mbcnt_lo_u32_b32 v1, -1, 0
	v_mbcnt_hi_u32_b32 v6, -1, v1
	v_mov_b32_e32 v1, 0x80
	v_lshl_or_b32 v1, v6, 2, v1
	ds_bpermute_b32 v3, v1, v2
	v_and_b32_e32 v7, 63, v6
	v_cmp_gt_u32_e32 vcc, 48, v7
	v_cndmask_b32_e64 v4, 0, 16, vcc
	v_cmp_gt_u32_e32 vcc, 56, v7
	s_waitcnt lgkmcnt(0)
	v_add_f32_e32 v5, v2, v3
	v_add_lshl_u32 v2, v4, v6, 2
	ds_bpermute_b32 v4, v2, v5
	v_cndmask_b32_e64 v3, 0, 8, vcc
	v_add_lshl_u32 v3, v3, v6, 2
	v_cmp_gt_u32_e32 vcc, 60, v7
	s_waitcnt lgkmcnt(0)
	v_add_f32_e32 v5, v5, v4
	ds_bpermute_b32 v8, v3, v5
	v_cndmask_b32_e64 v4, 0, 4, vcc
	v_add_lshl_u32 v4, v4, v6, 2
	v_cmp_gt_u32_e32 vcc, 62, v7
	s_waitcnt lgkmcnt(0)
	s_barrier
	v_add_f32_e32 v8, v5, v8
	ds_bpermute_b32 v9, v4, v8
	v_cndmask_b32_e64 v5, 0, 2, vcc
	v_add_lshl_u32 v5, v5, v6, 2
	v_cmp_ne_u32_e32 vcc, 63, v7
	v_addc_co_u32_e32 v6, vcc, 0, v6, vcc
	s_waitcnt lgkmcnt(0)
	v_add_f32_e32 v8, v8, v9
	ds_bpermute_b32 v9, v5, v8
	v_lshlrev_b32_e32 v6, 2, v6
	v_cmp_eq_u32_e32 vcc, 0, v10
	s_waitcnt lgkmcnt(0)
	v_add_f32_e32 v7, v8, v9
	ds_bpermute_b32 v8, v6, v7
	s_and_saveexec_b64 s[0:1], vcc
	s_cbranch_execz .LBB66_12
; %bb.11:
	s_waitcnt lgkmcnt(0)
	v_add_f32_e32 v7, v7, v8
	v_lshrrev_b32_e32 v8, 4, v0
	v_add_u32_e32 v8, 0, v8
	ds_write_b32 v8, v7
.LBB66_12:
	s_or_b64 exec, exec, s[0:1]
	v_cmp_gt_u32_e32 vcc, s34, v0
	v_mov_b32_e32 v7, 0
	s_waitcnt lgkmcnt(0)
	s_barrier
	s_and_saveexec_b64 s[0:1], vcc
	s_cbranch_execnz .LBB66_16
; %bb.13:
	s_or_b64 exec, exec, s[0:1]
	v_cmp_gt_u32_e32 vcc, 64, v0
	s_and_saveexec_b64 s[0:1], vcc
	s_cbranch_execnz .LBB66_17
.LBB66_14:
	s_or_b64 exec, exec, s[0:1]
	v_cmp_eq_u32_e32 vcc, 0, v0
	s_and_saveexec_b64 s[0:1], vcc
	s_cbranch_execnz .LBB66_18
.LBB66_15:
	s_endpgm
.LBB66_16:
	v_lshl_add_u32 v7, v10, 2, 0
	ds_read_b32 v7, v7
	s_or_b64 exec, exec, s[0:1]
	v_cmp_gt_u32_e32 vcc, 64, v0
	s_and_saveexec_b64 s[0:1], vcc
	s_cbranch_execz .LBB66_14
.LBB66_17:
	s_waitcnt lgkmcnt(0)
	ds_bpermute_b32 v1, v1, v7
	s_waitcnt lgkmcnt(0)
	v_add_f32_e32 v1, v7, v1
	ds_bpermute_b32 v2, v2, v1
	s_waitcnt lgkmcnt(0)
	v_add_f32_e32 v1, v1, v2
	;; [unrolled: 3-line block ×6, first 2 shown]
	s_or_b64 exec, exec, s[0:1]
	v_cmp_eq_u32_e32 vcc, 0, v0
	s_and_saveexec_b64 s[0:1], vcc
	s_cbranch_execz .LBB66_15
.LBB66_18:
	s_mul_i32 s0, s31, s16
	s_add_i32 s0, s0, s30
	s_mul_i32 s33, s33, s17
	s_add_i32 s0, s0, s33
	s_waitcnt lgkmcnt(0)
	v_cvt_f16_f32_e32 v0, v7
	s_ashr_i32 s1, s0, 31
	s_lshl_b64 s[0:1], s[0:1], 1
	s_add_u32 s0, s6, s0
	s_addc_u32 s1, s7, s1
	v_mov_b32_e32 v1, 0
	global_store_short v1, v0, s[0:1]
	s_endpgm
	.section	.rodata,"a",@progbits
	.p2align	6, 0x0
	.amdhsa_kernel _ZN2at6native12_GLOBAL__N_135conv_depthwise2d_grad_weight_kernelIN3c104HalfEjEEvN5torch10headeronly6detail27GenericPackedTensorAccessorINS7_14TensorAccessorINS3_8ArrayRefIlEEKT_Lm3ENS6_16DefaultPtrTraitsEiEENS_6detail16IndexBoundsCheckILm4EiEESD_Lm4ESE_iEESJ_NS8_INS9_ISB_SC_Lm3ESE_iEESI_SC_Lm4ESE_iEEiiiiiiiiiiiiiiii
		.amdhsa_group_segment_fixed_size 0
		.amdhsa_private_segment_fixed_size 0
		.amdhsa_kernarg_size 440
		.amdhsa_user_sgpr_count 6
		.amdhsa_user_sgpr_private_segment_buffer 1
		.amdhsa_user_sgpr_dispatch_ptr 0
		.amdhsa_user_sgpr_queue_ptr 0
		.amdhsa_user_sgpr_kernarg_segment_ptr 1
		.amdhsa_user_sgpr_dispatch_id 0
		.amdhsa_user_sgpr_flat_scratch_init 0
		.amdhsa_user_sgpr_private_segment_size 0
		.amdhsa_uses_dynamic_stack 0
		.amdhsa_system_sgpr_private_segment_wavefront_offset 0
		.amdhsa_system_sgpr_workgroup_id_x 1
		.amdhsa_system_sgpr_workgroup_id_y 0
		.amdhsa_system_sgpr_workgroup_id_z 0
		.amdhsa_system_sgpr_workgroup_info 0
		.amdhsa_system_vgpr_workitem_id 0
		.amdhsa_next_free_vgpr 18
		.amdhsa_next_free_sgpr 40
		.amdhsa_reserve_vcc 1
		.amdhsa_reserve_flat_scratch 0
		.amdhsa_float_round_mode_32 0
		.amdhsa_float_round_mode_16_64 0
		.amdhsa_float_denorm_mode_32 3
		.amdhsa_float_denorm_mode_16_64 3
		.amdhsa_dx10_clamp 1
		.amdhsa_ieee_mode 1
		.amdhsa_fp16_overflow 0
		.amdhsa_exception_fp_ieee_invalid_op 0
		.amdhsa_exception_fp_denorm_src 0
		.amdhsa_exception_fp_ieee_div_zero 0
		.amdhsa_exception_fp_ieee_overflow 0
		.amdhsa_exception_fp_ieee_underflow 0
		.amdhsa_exception_fp_ieee_inexact 0
		.amdhsa_exception_int_div_zero 0
	.end_amdhsa_kernel
	.section	.text._ZN2at6native12_GLOBAL__N_135conv_depthwise2d_grad_weight_kernelIN3c104HalfEjEEvN5torch10headeronly6detail27GenericPackedTensorAccessorINS7_14TensorAccessorINS3_8ArrayRefIlEEKT_Lm3ENS6_16DefaultPtrTraitsEiEENS_6detail16IndexBoundsCheckILm4EiEESD_Lm4ESE_iEESJ_NS8_INS9_ISB_SC_Lm3ESE_iEESI_SC_Lm4ESE_iEEiiiiiiiiiiiiiiii,"axG",@progbits,_ZN2at6native12_GLOBAL__N_135conv_depthwise2d_grad_weight_kernelIN3c104HalfEjEEvN5torch10headeronly6detail27GenericPackedTensorAccessorINS7_14TensorAccessorINS3_8ArrayRefIlEEKT_Lm3ENS6_16DefaultPtrTraitsEiEENS_6detail16IndexBoundsCheckILm4EiEESD_Lm4ESE_iEESJ_NS8_INS9_ISB_SC_Lm3ESE_iEESI_SC_Lm4ESE_iEEiiiiiiiiiiiiiiii,comdat
.Lfunc_end66:
	.size	_ZN2at6native12_GLOBAL__N_135conv_depthwise2d_grad_weight_kernelIN3c104HalfEjEEvN5torch10headeronly6detail27GenericPackedTensorAccessorINS7_14TensorAccessorINS3_8ArrayRefIlEEKT_Lm3ENS6_16DefaultPtrTraitsEiEENS_6detail16IndexBoundsCheckILm4EiEESD_Lm4ESE_iEESJ_NS8_INS9_ISB_SC_Lm3ESE_iEESI_SC_Lm4ESE_iEEiiiiiiiiiiiiiiii, .Lfunc_end66-_ZN2at6native12_GLOBAL__N_135conv_depthwise2d_grad_weight_kernelIN3c104HalfEjEEvN5torch10headeronly6detail27GenericPackedTensorAccessorINS7_14TensorAccessorINS3_8ArrayRefIlEEKT_Lm3ENS6_16DefaultPtrTraitsEiEENS_6detail16IndexBoundsCheckILm4EiEESD_Lm4ESE_iEESJ_NS8_INS9_ISB_SC_Lm3ESE_iEESI_SC_Lm4ESE_iEEiiiiiiiiiiiiiiii
                                        ; -- End function
	.set _ZN2at6native12_GLOBAL__N_135conv_depthwise2d_grad_weight_kernelIN3c104HalfEjEEvN5torch10headeronly6detail27GenericPackedTensorAccessorINS7_14TensorAccessorINS3_8ArrayRefIlEEKT_Lm3ENS6_16DefaultPtrTraitsEiEENS_6detail16IndexBoundsCheckILm4EiEESD_Lm4ESE_iEESJ_NS8_INS9_ISB_SC_Lm3ESE_iEESI_SC_Lm4ESE_iEEiiiiiiiiiiiiiiii.num_vgpr, 18
	.set _ZN2at6native12_GLOBAL__N_135conv_depthwise2d_grad_weight_kernelIN3c104HalfEjEEvN5torch10headeronly6detail27GenericPackedTensorAccessorINS7_14TensorAccessorINS3_8ArrayRefIlEEKT_Lm3ENS6_16DefaultPtrTraitsEiEENS_6detail16IndexBoundsCheckILm4EiEESD_Lm4ESE_iEESJ_NS8_INS9_ISB_SC_Lm3ESE_iEESI_SC_Lm4ESE_iEEiiiiiiiiiiiiiiii.num_agpr, 0
	.set _ZN2at6native12_GLOBAL__N_135conv_depthwise2d_grad_weight_kernelIN3c104HalfEjEEvN5torch10headeronly6detail27GenericPackedTensorAccessorINS7_14TensorAccessorINS3_8ArrayRefIlEEKT_Lm3ENS6_16DefaultPtrTraitsEiEENS_6detail16IndexBoundsCheckILm4EiEESD_Lm4ESE_iEESJ_NS8_INS9_ISB_SC_Lm3ESE_iEESI_SC_Lm4ESE_iEEiiiiiiiiiiiiiiii.numbered_sgpr, 40
	.set _ZN2at6native12_GLOBAL__N_135conv_depthwise2d_grad_weight_kernelIN3c104HalfEjEEvN5torch10headeronly6detail27GenericPackedTensorAccessorINS7_14TensorAccessorINS3_8ArrayRefIlEEKT_Lm3ENS6_16DefaultPtrTraitsEiEENS_6detail16IndexBoundsCheckILm4EiEESD_Lm4ESE_iEESJ_NS8_INS9_ISB_SC_Lm3ESE_iEESI_SC_Lm4ESE_iEEiiiiiiiiiiiiiiii.num_named_barrier, 0
	.set _ZN2at6native12_GLOBAL__N_135conv_depthwise2d_grad_weight_kernelIN3c104HalfEjEEvN5torch10headeronly6detail27GenericPackedTensorAccessorINS7_14TensorAccessorINS3_8ArrayRefIlEEKT_Lm3ENS6_16DefaultPtrTraitsEiEENS_6detail16IndexBoundsCheckILm4EiEESD_Lm4ESE_iEESJ_NS8_INS9_ISB_SC_Lm3ESE_iEESI_SC_Lm4ESE_iEEiiiiiiiiiiiiiiii.private_seg_size, 0
	.set _ZN2at6native12_GLOBAL__N_135conv_depthwise2d_grad_weight_kernelIN3c104HalfEjEEvN5torch10headeronly6detail27GenericPackedTensorAccessorINS7_14TensorAccessorINS3_8ArrayRefIlEEKT_Lm3ENS6_16DefaultPtrTraitsEiEENS_6detail16IndexBoundsCheckILm4EiEESD_Lm4ESE_iEESJ_NS8_INS9_ISB_SC_Lm3ESE_iEESI_SC_Lm4ESE_iEEiiiiiiiiiiiiiiii.uses_vcc, 1
	.set _ZN2at6native12_GLOBAL__N_135conv_depthwise2d_grad_weight_kernelIN3c104HalfEjEEvN5torch10headeronly6detail27GenericPackedTensorAccessorINS7_14TensorAccessorINS3_8ArrayRefIlEEKT_Lm3ENS6_16DefaultPtrTraitsEiEENS_6detail16IndexBoundsCheckILm4EiEESD_Lm4ESE_iEESJ_NS8_INS9_ISB_SC_Lm3ESE_iEESI_SC_Lm4ESE_iEEiiiiiiiiiiiiiiii.uses_flat_scratch, 0
	.set _ZN2at6native12_GLOBAL__N_135conv_depthwise2d_grad_weight_kernelIN3c104HalfEjEEvN5torch10headeronly6detail27GenericPackedTensorAccessorINS7_14TensorAccessorINS3_8ArrayRefIlEEKT_Lm3ENS6_16DefaultPtrTraitsEiEENS_6detail16IndexBoundsCheckILm4EiEESD_Lm4ESE_iEESJ_NS8_INS9_ISB_SC_Lm3ESE_iEESI_SC_Lm4ESE_iEEiiiiiiiiiiiiiiii.has_dyn_sized_stack, 0
	.set _ZN2at6native12_GLOBAL__N_135conv_depthwise2d_grad_weight_kernelIN3c104HalfEjEEvN5torch10headeronly6detail27GenericPackedTensorAccessorINS7_14TensorAccessorINS3_8ArrayRefIlEEKT_Lm3ENS6_16DefaultPtrTraitsEiEENS_6detail16IndexBoundsCheckILm4EiEESD_Lm4ESE_iEESJ_NS8_INS9_ISB_SC_Lm3ESE_iEESI_SC_Lm4ESE_iEEiiiiiiiiiiiiiiii.has_recursion, 0
	.set _ZN2at6native12_GLOBAL__N_135conv_depthwise2d_grad_weight_kernelIN3c104HalfEjEEvN5torch10headeronly6detail27GenericPackedTensorAccessorINS7_14TensorAccessorINS3_8ArrayRefIlEEKT_Lm3ENS6_16DefaultPtrTraitsEiEENS_6detail16IndexBoundsCheckILm4EiEESD_Lm4ESE_iEESJ_NS8_INS9_ISB_SC_Lm3ESE_iEESI_SC_Lm4ESE_iEEiiiiiiiiiiiiiiii.has_indirect_call, 0
	.section	.AMDGPU.csdata,"",@progbits
; Kernel info:
; codeLenInByte = 1564
; TotalNumSgprs: 44
; NumVgprs: 18
; ScratchSize: 0
; MemoryBound: 0
; FloatMode: 240
; IeeeMode: 1
; LDSByteSize: 0 bytes/workgroup (compile time only)
; SGPRBlocks: 5
; VGPRBlocks: 4
; NumSGPRsForWavesPerEU: 44
; NumVGPRsForWavesPerEU: 18
; Occupancy: 10
; WaveLimiterHint : 0
; COMPUTE_PGM_RSRC2:SCRATCH_EN: 0
; COMPUTE_PGM_RSRC2:USER_SGPR: 6
; COMPUTE_PGM_RSRC2:TRAP_HANDLER: 0
; COMPUTE_PGM_RSRC2:TGID_X_EN: 1
; COMPUTE_PGM_RSRC2:TGID_Y_EN: 0
; COMPUTE_PGM_RSRC2:TGID_Z_EN: 0
; COMPUTE_PGM_RSRC2:TIDIG_COMP_CNT: 0
	.section	.text._ZN2at6native12_GLOBAL__N_135conv_depthwise2d_grad_weight_kernelIN3c108BFloat16EjEEvN5torch10headeronly6detail27GenericPackedTensorAccessorINS7_14TensorAccessorINS3_8ArrayRefIlEEKT_Lm3ENS6_16DefaultPtrTraitsEiEENS_6detail16IndexBoundsCheckILm4EiEESD_Lm4ESE_iEESJ_NS8_INS9_ISB_SC_Lm3ESE_iEESI_SC_Lm4ESE_iEEiiiiiiiiiiiiiiii,"axG",@progbits,_ZN2at6native12_GLOBAL__N_135conv_depthwise2d_grad_weight_kernelIN3c108BFloat16EjEEvN5torch10headeronly6detail27GenericPackedTensorAccessorINS7_14TensorAccessorINS3_8ArrayRefIlEEKT_Lm3ENS6_16DefaultPtrTraitsEiEENS_6detail16IndexBoundsCheckILm4EiEESD_Lm4ESE_iEESJ_NS8_INS9_ISB_SC_Lm3ESE_iEESI_SC_Lm4ESE_iEEiiiiiiiiiiiiiiii,comdat
	.globl	_ZN2at6native12_GLOBAL__N_135conv_depthwise2d_grad_weight_kernelIN3c108BFloat16EjEEvN5torch10headeronly6detail27GenericPackedTensorAccessorINS7_14TensorAccessorINS3_8ArrayRefIlEEKT_Lm3ENS6_16DefaultPtrTraitsEiEENS_6detail16IndexBoundsCheckILm4EiEESD_Lm4ESE_iEESJ_NS8_INS9_ISB_SC_Lm3ESE_iEESI_SC_Lm4ESE_iEEiiiiiiiiiiiiiiii ; -- Begin function _ZN2at6native12_GLOBAL__N_135conv_depthwise2d_grad_weight_kernelIN3c108BFloat16EjEEvN5torch10headeronly6detail27GenericPackedTensorAccessorINS7_14TensorAccessorINS3_8ArrayRefIlEEKT_Lm3ENS6_16DefaultPtrTraitsEiEENS_6detail16IndexBoundsCheckILm4EiEESD_Lm4ESE_iEESJ_NS8_INS9_ISB_SC_Lm3ESE_iEESI_SC_Lm4ESE_iEEiiiiiiiiiiiiiiii
	.p2align	8
	.type	_ZN2at6native12_GLOBAL__N_135conv_depthwise2d_grad_weight_kernelIN3c108BFloat16EjEEvN5torch10headeronly6detail27GenericPackedTensorAccessorINS7_14TensorAccessorINS3_8ArrayRefIlEEKT_Lm3ENS6_16DefaultPtrTraitsEiEENS_6detail16IndexBoundsCheckILm4EiEESD_Lm4ESE_iEESJ_NS8_INS9_ISB_SC_Lm3ESE_iEESI_SC_Lm4ESE_iEEiiiiiiiiiiiiiiii,@function
_ZN2at6native12_GLOBAL__N_135conv_depthwise2d_grad_weight_kernelIN3c108BFloat16EjEEvN5torch10headeronly6detail27GenericPackedTensorAccessorINS7_14TensorAccessorINS3_8ArrayRefIlEEKT_Lm3ENS6_16DefaultPtrTraitsEiEENS_6detail16IndexBoundsCheckILm4EiEESD_Lm4ESE_iEESJ_NS8_INS9_ISB_SC_Lm3ESE_iEESI_SC_Lm4ESE_iEEiiiiiiiiiiiiiiii: ; @_ZN2at6native12_GLOBAL__N_135conv_depthwise2d_grad_weight_kernelIN3c108BFloat16EjEEvN5torch10headeronly6detail27GenericPackedTensorAccessorINS7_14TensorAccessorINS3_8ArrayRefIlEEKT_Lm3ENS6_16DefaultPtrTraitsEiEENS_6detail16IndexBoundsCheckILm4EiEESD_Lm4ESE_iEESJ_NS8_INS9_ISB_SC_Lm3ESE_iEESI_SC_Lm4ESE_iEEiiiiiiiiiiiiiiii
; %bb.0:
	s_load_dwordx16 s[8:23], s[4:5], 0x78
	s_abs_i32 s2, s6
	s_ashr_i32 s1, s6, 31
	v_lshrrev_b32_e32 v11, 6, v0
	v_and_b32_e32 v10, 63, v0
	s_waitcnt lgkmcnt(0)
	s_abs_i32 s0, s16
	v_cvt_f32_u32_e32 v1, s0
	s_sub_i32 s7, 0, s0
	s_ashr_i32 s3, s16, 31
	s_xor_b32 s3, s1, s3
	v_rcp_iflag_f32_e32 v1, v1
	v_cmp_gt_i32_e32 vcc, s8, v11
	v_mov_b32_e32 v2, 0
	v_mul_f32_e32 v1, 0x4f7ffffe, v1
	v_cvt_u32_f32_e32 v1, v1
	v_readfirstlane_b32 s24, v1
	s_mul_i32 s7, s7, s24
	s_mul_hi_u32 s7, s24, s7
	s_add_i32 s24, s24, s7
	s_mul_hi_u32 s7, s2, s24
	s_mul_i32 s24, s7, s0
	s_sub_i32 s24, s2, s24
	s_add_i32 s25, s7, 1
	s_sub_i32 s26, s24, s0
	s_cmp_ge_u32 s24, s0
	s_cselect_b32 s7, s25, s7
	s_cselect_b32 s24, s26, s24
	s_add_i32 s25, s7, 1
	s_cmp_ge_u32 s24, s0
	s_cselect_b32 s0, s25, s7
	s_abs_i32 s7, s17
	v_cvt_f32_u32_e32 v1, s7
	s_xor_b32 s0, s0, s3
	s_sub_i32 s0, s0, s3
	s_mul_i32 s3, s0, s16
	v_rcp_iflag_f32_e32 v1, v1
	s_sub_i32 s24, 0, s7
	s_sub_i32 s30, s6, s3
	s_ashr_i32 s25, s0, 31
	v_mul_f32_e32 v1, 0x4f7ffffe, v1
	v_cvt_u32_f32_e32 v1, v1
	s_abs_i32 s0, s0
	s_mul_i32 s17, s17, s16
	v_readfirstlane_b32 s3, v1
	s_mul_i32 s24, s24, s3
	s_mul_hi_u32 s6, s3, s24
	s_add_i32 s3, s3, s6
	s_mul_hi_u32 s3, s0, s3
	s_mul_i32 s3, s3, s7
	s_sub_i32 s0, s0, s3
	s_sub_i32 s3, s0, s7
	s_cmp_ge_u32 s0, s7
	s_cselect_b32 s0, s3, s0
	s_sub_i32 s3, s0, s7
	s_cmp_ge_u32 s0, s7
	s_cselect_b32 s0, s3, s0
	s_abs_i32 s3, s17
	v_cvt_f32_u32_e32 v1, s3
	s_ashr_i32 s6, s17, 31
	s_xor_b32 s7, s0, s25
	s_xor_b32 s0, s1, s6
	v_rcp_iflag_f32_e32 v1, v1
	s_sub_i32 s1, 0, s3
	s_sub_i32 s31, s7, s25
	v_mul_f32_e32 v1, 0x4f7ffffe, v1
	v_cvt_u32_f32_e32 v1, v1
	v_readfirstlane_b32 s6, v1
	s_mul_i32 s1, s1, s6
	s_mul_hi_u32 s1, s6, s1
	s_add_i32 s6, s6, s1
	s_mul_hi_u32 s1, s2, s6
	s_mul_i32 s6, s1, s3
	s_sub_i32 s2, s2, s6
	s_add_i32 s7, s1, 1
	s_sub_i32 s6, s2, s3
	s_cmp_ge_u32 s2, s3
	s_cselect_b32 s1, s7, s1
	s_cselect_b32 s2, s6, s2
	s_add_i32 s6, s1, 1
	s_cmp_ge_u32 s2, s3
	s_cselect_b32 s1, s6, s1
	s_abs_i32 s2, s11
	v_cvt_f32_u32_e32 v1, s2
	s_load_dwordx2 s[6:7], s[4:5], 0x50
	s_load_dword s3, s[4:5], 0xc4
	s_xor_b32 s1, s1, s0
	v_rcp_iflag_f32_e32 v1, v1
	s_sub_i32 s33, s1, s0
	s_waitcnt lgkmcnt(0)
	s_bfe_u32 s34, s3, 0xa0006
	v_mul_f32_e32 v1, 0x4f7ffffe, v1
	v_cvt_u32_f32_e32 v1, v1
	v_readfirstlane_b32 s3, v1
	s_and_saveexec_b64 s[24:25], vcc
	s_cbranch_execz .LBB67_10
; %bb.1:
	s_sub_i32 s26, 0, s2
	v_cvt_f32_u32_e32 v1, s14
	s_mul_i32 s26, s26, s3
	s_mul_hi_u32 s26, s3, s26
	s_abs_i32 s36, s33
	s_add_i32 s3, s3, s26
	s_mul_hi_u32 s3, s36, s3
	v_rcp_iflag_f32_e32 v1, v1
	s_load_dwordx2 s[26:27], s[4:5], 0x0
	s_load_dwordx2 s[28:29], s[4:5], 0x28
	s_mul_i32 s5, s3, s2
	s_ashr_i32 s35, s33, 31
	s_ashr_i32 s11, s11, 31
	s_sub_i32 s5, s36, s5
	s_xor_b32 s4, s35, s11
	s_add_i32 s11, s3, 1
	s_sub_i32 s35, s5, s2
	s_cmp_ge_u32 s5, s2
	v_mul_f32_e32 v1, 0x4f7ffffe, v1
	s_cselect_b32 s3, s11, s3
	v_cvt_u32_f32_e32 v1, v1
	s_cselect_b32 s5, s35, s5
	s_add_i32 s11, s3, 1
	s_cmp_ge_u32 s5, s2
	s_cselect_b32 s2, s11, s3
	s_sub_i32 s36, 0, s14
	v_mul_lo_u32 v2, s36, v1
	v_mul_lo_u32 v7, s10, v11
	s_xor_b32 s2, s2, s4
	s_sub_i32 s35, s2, s4
	v_mul_hi_u32 v2, v1, v2
	s_mul_i32 s2, s30, s22
	s_sub_i32 s37, s2, s20
	s_mul_i32 s2, s31, s23
	v_add_u32_e32 v1, v1, v2
	v_mov_b32_e32 v2, 0
	s_sub_i32 s38, s2, s21
	v_mad_u64_u32 v[3:4], s[2:3], v1, v10, 0
	v_lshlrev_b64 v[5:6], 6, v[1:2]
	v_add_u32_e32 v1, s1, v7
	s_mul_i32 s15, s15, s14
	v_subrev_u32_e32 v1, s0, v1
	v_mul_lo_u32 v12, s15, v1
	s_mul_i32 s39, s15, s10
	v_cmp_gt_u32_e32 vcc, s15, v10
	s_mul_i32 s39, s39, s34
	s_mov_b64 s[10:11], 0
	s_branch .LBB67_4
.LBB67_2:                               ;   in Loop: Header=BB67_4 Depth=1
	s_or_b64 exec, exec, s[22:23]
.LBB67_3:                               ;   in Loop: Header=BB67_4 Depth=1
	s_or_b64 exec, exec, s[20:21]
	v_add_u32_e32 v11, s34, v11
	v_cmp_le_i32_e64 s[0:1], s8, v11
	s_or_b64 s[10:11], s[0:1], s[10:11]
	v_add_u32_e32 v12, s39, v12
	s_andn2_b64 exec, exec, s[10:11]
	s_cbranch_execz .LBB67_9
.LBB67_4:                               ; =>This Loop Header: Depth=1
                                        ;     Child Loop BB67_7 Depth 2
	s_and_saveexec_b64 s[20:21], vcc
	s_cbranch_execz .LBB67_3
; %bb.5:                                ;   in Loop: Header=BB67_4 Depth=1
	v_mul_lo_u32 v1, v11, s9
	v_mov_b32_e32 v8, v4
	s_mov_b64 s[22:23], 0
	v_mov_b32_e32 v7, v3
	v_add_u32_e32 v1, s35, v1
	v_mul_lo_u32 v13, v1, s13
	v_mov_b32_e32 v1, v10
	s_branch .LBB67_7
.LBB67_6:                               ;   in Loop: Header=BB67_7 Depth=2
	s_or_b64 exec, exec, s[2:3]
	v_add_u32_e32 v1, 64, v1
	v_cmp_le_u32_e64 s[0:1], s15, v1
	s_or_b64 s[22:23], s[0:1], s[22:23]
	v_add_co_u32_e64 v7, s[0:1], v7, v5
	v_addc_co_u32_e64 v8, s[0:1], v8, v6, s[0:1]
	s_andn2_b64 exec, exec, s[22:23]
	s_cbranch_execz .LBB67_2
.LBB67_7:                               ;   Parent Loop BB67_4 Depth=1
                                        ; =>  This Inner Loop Header: Depth=2
	v_not_b32_e32 v9, v8
	v_mad_u64_u32 v[14:15], s[0:1], s36, v8, v[1:2]
	v_mad_u64_u32 v[15:16], s[0:1], s14, v9, v[1:2]
	v_add_u32_e32 v9, 1, v8
	v_cmp_le_u32_e64 s[0:1], s14, v14
	v_cndmask_b32_e64 v9, v8, v9, s[0:1]
	v_cndmask_b32_e64 v14, v14, v15, s[0:1]
	v_add_u32_e32 v15, 1, v9
	v_cmp_le_u32_e64 s[0:1], s14, v14
	v_cndmask_b32_e64 v9, v9, v15, s[0:1]
	v_mad_u64_u32 v[14:15], s[0:1], s36, v9, v[1:2]
	v_mul_lo_u32 v15, v9, s19
	v_mul_lo_u32 v14, v14, s18
	v_add_u32_e32 v9, s37, v14
	v_add_u32_e32 v14, s38, v15
	v_or_b32_e32 v15, v9, v14
	v_cmp_gt_i32_e64 s[2:3], s12, v9
	v_cmp_gt_i32_e64 s[4:5], s13, v14
	v_cmp_lt_i32_e64 s[0:1], -1, v15
	s_and_b64 s[2:3], s[2:3], s[4:5]
	s_and_b64 s[0:1], s[2:3], s[0:1]
	s_and_saveexec_b64 s[2:3], s[0:1]
	s_cbranch_execz .LBB67_6
; %bb.8:                                ;   in Loop: Header=BB67_7 Depth=2
	v_add_u32_e32 v14, v14, v13
	v_mad_u64_u32 v[14:15], s[0:1], v14, s12, v[9:10]
	v_add_u32_e32 v16, v12, v1
	v_ashrrev_i32_e32 v17, 31, v16
	v_ashrrev_i32_e32 v15, 31, v14
	v_lshlrev_b64 v[14:15], 1, v[14:15]
	s_waitcnt lgkmcnt(0)
	v_mov_b32_e32 v9, s29
	v_add_co_u32_e64 v14, s[0:1], s28, v14
	v_lshlrev_b64 v[16:17], 1, v[16:17]
	v_addc_co_u32_e64 v15, s[0:1], v9, v15, s[0:1]
	v_mov_b32_e32 v9, s27
	v_add_co_u32_e64 v16, s[0:1], s26, v16
	v_addc_co_u32_e64 v17, s[0:1], v9, v17, s[0:1]
	global_load_ushort v9, v[14:15], off
	global_load_ushort v18, v[16:17], off
	s_waitcnt vmcnt(1)
	v_lshlrev_b32_e32 v9, 16, v9
	s_waitcnt vmcnt(0)
	v_lshlrev_b32_e32 v14, 16, v18
	v_fmac_f32_e32 v2, v9, v14
	s_branch .LBB67_6
.LBB67_9:
	s_or_b64 exec, exec, s[10:11]
.LBB67_10:
	s_or_b64 exec, exec, s[24:25]
	v_mbcnt_lo_u32_b32 v1, -1, 0
	v_mbcnt_hi_u32_b32 v6, -1, v1
	v_mov_b32_e32 v1, 0x80
	v_lshl_or_b32 v1, v6, 2, v1
	ds_bpermute_b32 v3, v1, v2
	v_and_b32_e32 v7, 63, v6
	v_cmp_gt_u32_e32 vcc, 48, v7
	v_cndmask_b32_e64 v4, 0, 16, vcc
	v_cmp_gt_u32_e32 vcc, 56, v7
	s_waitcnt lgkmcnt(0)
	v_add_f32_e32 v5, v2, v3
	v_add_lshl_u32 v2, v4, v6, 2
	ds_bpermute_b32 v4, v2, v5
	v_cndmask_b32_e64 v3, 0, 8, vcc
	v_add_lshl_u32 v3, v3, v6, 2
	v_cmp_gt_u32_e32 vcc, 60, v7
	s_waitcnt lgkmcnt(0)
	v_add_f32_e32 v5, v5, v4
	ds_bpermute_b32 v8, v3, v5
	v_cndmask_b32_e64 v4, 0, 4, vcc
	v_add_lshl_u32 v4, v4, v6, 2
	v_cmp_gt_u32_e32 vcc, 62, v7
	s_waitcnt lgkmcnt(0)
	s_barrier
	v_add_f32_e32 v8, v5, v8
	ds_bpermute_b32 v9, v4, v8
	v_cndmask_b32_e64 v5, 0, 2, vcc
	v_add_lshl_u32 v5, v5, v6, 2
	v_cmp_ne_u32_e32 vcc, 63, v7
	v_addc_co_u32_e32 v6, vcc, 0, v6, vcc
	s_waitcnt lgkmcnt(0)
	v_add_f32_e32 v8, v8, v9
	ds_bpermute_b32 v9, v5, v8
	v_lshlrev_b32_e32 v6, 2, v6
	v_cmp_eq_u32_e32 vcc, 0, v10
	s_waitcnt lgkmcnt(0)
	v_add_f32_e32 v7, v8, v9
	ds_bpermute_b32 v8, v6, v7
	s_and_saveexec_b64 s[0:1], vcc
	s_cbranch_execz .LBB67_12
; %bb.11:
	s_waitcnt lgkmcnt(0)
	v_add_f32_e32 v7, v7, v8
	v_lshrrev_b32_e32 v8, 4, v0
	v_add_u32_e32 v8, 0, v8
	ds_write_b32 v8, v7
.LBB67_12:
	s_or_b64 exec, exec, s[0:1]
	v_cmp_gt_u32_e32 vcc, s34, v0
	v_mov_b32_e32 v7, 0
	s_waitcnt lgkmcnt(0)
	s_barrier
	s_and_saveexec_b64 s[0:1], vcc
	s_cbranch_execnz .LBB67_16
; %bb.13:
	s_or_b64 exec, exec, s[0:1]
	v_cmp_gt_u32_e32 vcc, 64, v0
	s_and_saveexec_b64 s[0:1], vcc
	s_cbranch_execnz .LBB67_17
.LBB67_14:
	s_or_b64 exec, exec, s[0:1]
	v_cmp_eq_u32_e32 vcc, 0, v0
	s_and_saveexec_b64 s[0:1], vcc
	s_cbranch_execnz .LBB67_18
.LBB67_15:
	s_endpgm
.LBB67_16:
	v_lshl_add_u32 v7, v10, 2, 0
	ds_read_b32 v7, v7
	s_or_b64 exec, exec, s[0:1]
	v_cmp_gt_u32_e32 vcc, 64, v0
	s_and_saveexec_b64 s[0:1], vcc
	s_cbranch_execz .LBB67_14
.LBB67_17:
	s_waitcnt lgkmcnt(0)
	ds_bpermute_b32 v1, v1, v7
	s_waitcnt lgkmcnt(0)
	v_add_f32_e32 v1, v7, v1
	ds_bpermute_b32 v2, v2, v1
	s_waitcnt lgkmcnt(0)
	v_add_f32_e32 v1, v1, v2
	;; [unrolled: 3-line block ×6, first 2 shown]
	s_or_b64 exec, exec, s[0:1]
	v_cmp_eq_u32_e32 vcc, 0, v0
	s_and_saveexec_b64 s[0:1], vcc
	s_cbranch_execz .LBB67_15
.LBB67_18:
	s_mul_i32 s0, s31, s16
	s_add_i32 s0, s0, s30
	s_mul_i32 s33, s33, s17
	s_add_i32 s0, s0, s33
	s_waitcnt lgkmcnt(0)
	v_bfe_u32 v0, v7, 16, 1
	s_movk_i32 s1, 0x7fff
	v_add3_u32 v0, v7, v0, s1
	s_ashr_i32 s1, s0, 31
	s_lshl_b64 s[0:1], s[0:1], 1
	v_cmp_o_f32_e32 vcc, v7, v7
	v_mov_b32_e32 v1, 0x7fc0
	s_add_u32 s0, s6, s0
	v_cndmask_b32_sdwa v0, v1, v0, vcc dst_sel:DWORD dst_unused:UNUSED_PAD src0_sel:DWORD src1_sel:WORD_1
	s_addc_u32 s1, s7, s1
	v_mov_b32_e32 v1, 0
	global_store_short v1, v0, s[0:1]
	s_endpgm
	.section	.rodata,"a",@progbits
	.p2align	6, 0x0
	.amdhsa_kernel _ZN2at6native12_GLOBAL__N_135conv_depthwise2d_grad_weight_kernelIN3c108BFloat16EjEEvN5torch10headeronly6detail27GenericPackedTensorAccessorINS7_14TensorAccessorINS3_8ArrayRefIlEEKT_Lm3ENS6_16DefaultPtrTraitsEiEENS_6detail16IndexBoundsCheckILm4EiEESD_Lm4ESE_iEESJ_NS8_INS9_ISB_SC_Lm3ESE_iEESI_SC_Lm4ESE_iEEiiiiiiiiiiiiiiii
		.amdhsa_group_segment_fixed_size 0
		.amdhsa_private_segment_fixed_size 0
		.amdhsa_kernarg_size 440
		.amdhsa_user_sgpr_count 6
		.amdhsa_user_sgpr_private_segment_buffer 1
		.amdhsa_user_sgpr_dispatch_ptr 0
		.amdhsa_user_sgpr_queue_ptr 0
		.amdhsa_user_sgpr_kernarg_segment_ptr 1
		.amdhsa_user_sgpr_dispatch_id 0
		.amdhsa_user_sgpr_flat_scratch_init 0
		.amdhsa_user_sgpr_private_segment_size 0
		.amdhsa_uses_dynamic_stack 0
		.amdhsa_system_sgpr_private_segment_wavefront_offset 0
		.amdhsa_system_sgpr_workgroup_id_x 1
		.amdhsa_system_sgpr_workgroup_id_y 0
		.amdhsa_system_sgpr_workgroup_id_z 0
		.amdhsa_system_sgpr_workgroup_info 0
		.amdhsa_system_vgpr_workitem_id 0
		.amdhsa_next_free_vgpr 19
		.amdhsa_next_free_sgpr 40
		.amdhsa_reserve_vcc 1
		.amdhsa_reserve_flat_scratch 0
		.amdhsa_float_round_mode_32 0
		.amdhsa_float_round_mode_16_64 0
		.amdhsa_float_denorm_mode_32 3
		.amdhsa_float_denorm_mode_16_64 3
		.amdhsa_dx10_clamp 1
		.amdhsa_ieee_mode 1
		.amdhsa_fp16_overflow 0
		.amdhsa_exception_fp_ieee_invalid_op 0
		.amdhsa_exception_fp_denorm_src 0
		.amdhsa_exception_fp_ieee_div_zero 0
		.amdhsa_exception_fp_ieee_overflow 0
		.amdhsa_exception_fp_ieee_underflow 0
		.amdhsa_exception_fp_ieee_inexact 0
		.amdhsa_exception_int_div_zero 0
	.end_amdhsa_kernel
	.section	.text._ZN2at6native12_GLOBAL__N_135conv_depthwise2d_grad_weight_kernelIN3c108BFloat16EjEEvN5torch10headeronly6detail27GenericPackedTensorAccessorINS7_14TensorAccessorINS3_8ArrayRefIlEEKT_Lm3ENS6_16DefaultPtrTraitsEiEENS_6detail16IndexBoundsCheckILm4EiEESD_Lm4ESE_iEESJ_NS8_INS9_ISB_SC_Lm3ESE_iEESI_SC_Lm4ESE_iEEiiiiiiiiiiiiiiii,"axG",@progbits,_ZN2at6native12_GLOBAL__N_135conv_depthwise2d_grad_weight_kernelIN3c108BFloat16EjEEvN5torch10headeronly6detail27GenericPackedTensorAccessorINS7_14TensorAccessorINS3_8ArrayRefIlEEKT_Lm3ENS6_16DefaultPtrTraitsEiEENS_6detail16IndexBoundsCheckILm4EiEESD_Lm4ESE_iEESJ_NS8_INS9_ISB_SC_Lm3ESE_iEESI_SC_Lm4ESE_iEEiiiiiiiiiiiiiiii,comdat
.Lfunc_end67:
	.size	_ZN2at6native12_GLOBAL__N_135conv_depthwise2d_grad_weight_kernelIN3c108BFloat16EjEEvN5torch10headeronly6detail27GenericPackedTensorAccessorINS7_14TensorAccessorINS3_8ArrayRefIlEEKT_Lm3ENS6_16DefaultPtrTraitsEiEENS_6detail16IndexBoundsCheckILm4EiEESD_Lm4ESE_iEESJ_NS8_INS9_ISB_SC_Lm3ESE_iEESI_SC_Lm4ESE_iEEiiiiiiiiiiiiiiii, .Lfunc_end67-_ZN2at6native12_GLOBAL__N_135conv_depthwise2d_grad_weight_kernelIN3c108BFloat16EjEEvN5torch10headeronly6detail27GenericPackedTensorAccessorINS7_14TensorAccessorINS3_8ArrayRefIlEEKT_Lm3ENS6_16DefaultPtrTraitsEiEENS_6detail16IndexBoundsCheckILm4EiEESD_Lm4ESE_iEESJ_NS8_INS9_ISB_SC_Lm3ESE_iEESI_SC_Lm4ESE_iEEiiiiiiiiiiiiiiii
                                        ; -- End function
	.set _ZN2at6native12_GLOBAL__N_135conv_depthwise2d_grad_weight_kernelIN3c108BFloat16EjEEvN5torch10headeronly6detail27GenericPackedTensorAccessorINS7_14TensorAccessorINS3_8ArrayRefIlEEKT_Lm3ENS6_16DefaultPtrTraitsEiEENS_6detail16IndexBoundsCheckILm4EiEESD_Lm4ESE_iEESJ_NS8_INS9_ISB_SC_Lm3ESE_iEESI_SC_Lm4ESE_iEEiiiiiiiiiiiiiiii.num_vgpr, 19
	.set _ZN2at6native12_GLOBAL__N_135conv_depthwise2d_grad_weight_kernelIN3c108BFloat16EjEEvN5torch10headeronly6detail27GenericPackedTensorAccessorINS7_14TensorAccessorINS3_8ArrayRefIlEEKT_Lm3ENS6_16DefaultPtrTraitsEiEENS_6detail16IndexBoundsCheckILm4EiEESD_Lm4ESE_iEESJ_NS8_INS9_ISB_SC_Lm3ESE_iEESI_SC_Lm4ESE_iEEiiiiiiiiiiiiiiii.num_agpr, 0
	.set _ZN2at6native12_GLOBAL__N_135conv_depthwise2d_grad_weight_kernelIN3c108BFloat16EjEEvN5torch10headeronly6detail27GenericPackedTensorAccessorINS7_14TensorAccessorINS3_8ArrayRefIlEEKT_Lm3ENS6_16DefaultPtrTraitsEiEENS_6detail16IndexBoundsCheckILm4EiEESD_Lm4ESE_iEESJ_NS8_INS9_ISB_SC_Lm3ESE_iEESI_SC_Lm4ESE_iEEiiiiiiiiiiiiiiii.numbered_sgpr, 40
	.set _ZN2at6native12_GLOBAL__N_135conv_depthwise2d_grad_weight_kernelIN3c108BFloat16EjEEvN5torch10headeronly6detail27GenericPackedTensorAccessorINS7_14TensorAccessorINS3_8ArrayRefIlEEKT_Lm3ENS6_16DefaultPtrTraitsEiEENS_6detail16IndexBoundsCheckILm4EiEESD_Lm4ESE_iEESJ_NS8_INS9_ISB_SC_Lm3ESE_iEESI_SC_Lm4ESE_iEEiiiiiiiiiiiiiiii.num_named_barrier, 0
	.set _ZN2at6native12_GLOBAL__N_135conv_depthwise2d_grad_weight_kernelIN3c108BFloat16EjEEvN5torch10headeronly6detail27GenericPackedTensorAccessorINS7_14TensorAccessorINS3_8ArrayRefIlEEKT_Lm3ENS6_16DefaultPtrTraitsEiEENS_6detail16IndexBoundsCheckILm4EiEESD_Lm4ESE_iEESJ_NS8_INS9_ISB_SC_Lm3ESE_iEESI_SC_Lm4ESE_iEEiiiiiiiiiiiiiiii.private_seg_size, 0
	.set _ZN2at6native12_GLOBAL__N_135conv_depthwise2d_grad_weight_kernelIN3c108BFloat16EjEEvN5torch10headeronly6detail27GenericPackedTensorAccessorINS7_14TensorAccessorINS3_8ArrayRefIlEEKT_Lm3ENS6_16DefaultPtrTraitsEiEENS_6detail16IndexBoundsCheckILm4EiEESD_Lm4ESE_iEESJ_NS8_INS9_ISB_SC_Lm3ESE_iEESI_SC_Lm4ESE_iEEiiiiiiiiiiiiiiii.uses_vcc, 1
	.set _ZN2at6native12_GLOBAL__N_135conv_depthwise2d_grad_weight_kernelIN3c108BFloat16EjEEvN5torch10headeronly6detail27GenericPackedTensorAccessorINS7_14TensorAccessorINS3_8ArrayRefIlEEKT_Lm3ENS6_16DefaultPtrTraitsEiEENS_6detail16IndexBoundsCheckILm4EiEESD_Lm4ESE_iEESJ_NS8_INS9_ISB_SC_Lm3ESE_iEESI_SC_Lm4ESE_iEEiiiiiiiiiiiiiiii.uses_flat_scratch, 0
	.set _ZN2at6native12_GLOBAL__N_135conv_depthwise2d_grad_weight_kernelIN3c108BFloat16EjEEvN5torch10headeronly6detail27GenericPackedTensorAccessorINS7_14TensorAccessorINS3_8ArrayRefIlEEKT_Lm3ENS6_16DefaultPtrTraitsEiEENS_6detail16IndexBoundsCheckILm4EiEESD_Lm4ESE_iEESJ_NS8_INS9_ISB_SC_Lm3ESE_iEESI_SC_Lm4ESE_iEEiiiiiiiiiiiiiiii.has_dyn_sized_stack, 0
	.set _ZN2at6native12_GLOBAL__N_135conv_depthwise2d_grad_weight_kernelIN3c108BFloat16EjEEvN5torch10headeronly6detail27GenericPackedTensorAccessorINS7_14TensorAccessorINS3_8ArrayRefIlEEKT_Lm3ENS6_16DefaultPtrTraitsEiEENS_6detail16IndexBoundsCheckILm4EiEESD_Lm4ESE_iEESJ_NS8_INS9_ISB_SC_Lm3ESE_iEESI_SC_Lm4ESE_iEEiiiiiiiiiiiiiiii.has_recursion, 0
	.set _ZN2at6native12_GLOBAL__N_135conv_depthwise2d_grad_weight_kernelIN3c108BFloat16EjEEvN5torch10headeronly6detail27GenericPackedTensorAccessorINS7_14TensorAccessorINS3_8ArrayRefIlEEKT_Lm3ENS6_16DefaultPtrTraitsEiEENS_6detail16IndexBoundsCheckILm4EiEESD_Lm4ESE_iEESJ_NS8_INS9_ISB_SC_Lm3ESE_iEESI_SC_Lm4ESE_iEEiiiiiiiiiiiiiiii.has_indirect_call, 0
	.section	.AMDGPU.csdata,"",@progbits
; Kernel info:
; codeLenInByte = 1608
; TotalNumSgprs: 44
; NumVgprs: 19
; ScratchSize: 0
; MemoryBound: 0
; FloatMode: 240
; IeeeMode: 1
; LDSByteSize: 0 bytes/workgroup (compile time only)
; SGPRBlocks: 5
; VGPRBlocks: 4
; NumSGPRsForWavesPerEU: 44
; NumVGPRsForWavesPerEU: 19
; Occupancy: 10
; WaveLimiterHint : 0
; COMPUTE_PGM_RSRC2:SCRATCH_EN: 0
; COMPUTE_PGM_RSRC2:USER_SGPR: 6
; COMPUTE_PGM_RSRC2:TRAP_HANDLER: 0
; COMPUTE_PGM_RSRC2:TGID_X_EN: 1
; COMPUTE_PGM_RSRC2:TGID_Y_EN: 0
; COMPUTE_PGM_RSRC2:TGID_Z_EN: 0
; COMPUTE_PGM_RSRC2:TIDIG_COMP_CNT: 0
	.section	.AMDGPU.gpr_maximums,"",@progbits
	.set amdgpu.max_num_vgpr, 0
	.set amdgpu.max_num_agpr, 0
	.set amdgpu.max_num_sgpr, 0
	.section	.AMDGPU.csdata,"",@progbits
	.type	__hip_cuid_dd57b770c74e8174,@object ; @__hip_cuid_dd57b770c74e8174
	.section	.bss,"aw",@nobits
	.globl	__hip_cuid_dd57b770c74e8174
__hip_cuid_dd57b770c74e8174:
	.byte	0                               ; 0x0
	.size	__hip_cuid_dd57b770c74e8174, 1

	.ident	"AMD clang version 22.0.0git (https://github.com/RadeonOpenCompute/llvm-project roc-7.2.4 26084 f58b06dce1f9c15707c5f808fd002e18c2accf7e)"
	.section	".note.GNU-stack","",@progbits
	.addrsig
	.addrsig_sym __hip_cuid_dd57b770c74e8174
	.amdgpu_metadata
---
amdhsa.kernels:
  - .args:
      - .offset:         0
        .size:           40
        .value_kind:     by_value
      - .offset:         40
        .size:           40
        .value_kind:     by_value
      - .offset:         80
        .size:           40
        .value_kind:     by_value
      - .offset:         120
        .size:           16
        .value_kind:     by_value
      - .offset:         136
        .size:           1
        .value_kind:     by_value
      - .offset:         140
        .size:           4
        .value_kind:     by_value
      - .offset:         144
        .size:           4
        .value_kind:     by_value
      - .offset:         148
        .size:           4
        .value_kind:     by_value
      - .offset:         152
        .size:           4
        .value_kind:     by_value
      - .offset:         156
        .size:           4
        .value_kind:     by_value
      - .offset:         160
        .size:           4
        .value_kind:     by_value
      - .offset:         164
        .size:           4
        .value_kind:     by_value
      - .offset:         168
        .size:           4
        .value_kind:     by_value
      - .offset:         172
        .size:           4
        .value_kind:     by_value
      - .offset:         176
        .size:           4
        .value_kind:     by_value
      - .offset:         180
        .size:           4
        .value_kind:     by_value
      - .offset:         184
        .size:           4
        .value_kind:     by_value
      - .offset:         188
        .size:           4
        .value_kind:     by_value
      - .offset:         192
        .size:           4
        .value_kind:     by_value
      - .offset:         196
        .size:           4
        .value_kind:     by_value
      - .offset:         200
        .size:           4
        .value_kind:     hidden_block_count_x
      - .offset:         204
        .size:           4
        .value_kind:     hidden_block_count_y
      - .offset:         208
        .size:           4
        .value_kind:     hidden_block_count_z
      - .offset:         212
        .size:           2
        .value_kind:     hidden_group_size_x
      - .offset:         214
        .size:           2
        .value_kind:     hidden_group_size_y
      - .offset:         216
        .size:           2
        .value_kind:     hidden_group_size_z
      - .offset:         218
        .size:           2
        .value_kind:     hidden_remainder_x
      - .offset:         220
        .size:           2
        .value_kind:     hidden_remainder_y
      - .offset:         222
        .size:           2
        .value_kind:     hidden_remainder_z
      - .offset:         240
        .size:           8
        .value_kind:     hidden_global_offset_x
      - .offset:         248
        .size:           8
        .value_kind:     hidden_global_offset_y
      - .offset:         256
        .size:           8
        .value_kind:     hidden_global_offset_z
      - .offset:         264
        .size:           2
        .value_kind:     hidden_grid_dims
    .group_segment_fixed_size: 0
    .kernarg_segment_align: 8
    .kernarg_segment_size: 456
    .language:       OpenCL C
    .language_version:
      - 2
      - 0
    .max_flat_workgroup_size: 1024
    .name:           _ZN2at6native12_GLOBAL__N_131conv_depthwise2d_forward_kernelILi5EdiEEvN5torch10headeronly6detail27GenericPackedTensorAccessorINS5_14TensorAccessorIN3c108ArrayRefIlEEKT0_Lm3ENS4_16DefaultPtrTraitsEiEENS_6detail16IndexBoundsCheckILm4EiEESC_Lm4ESD_iEENS6_INS7_ISA_SB_Lm3ESD_iEESH_SB_Lm4ESD_iEESI_NS6_INS7_ISA_SC_Lm0ESD_iEENSG_ILm1EiEESC_Lm1ESD_iEEbT1_iiiiiiiiiiiiii
    .private_segment_fixed_size: 0
    .sgpr_count:     55
    .sgpr_spill_count: 0
    .symbol:         _ZN2at6native12_GLOBAL__N_131conv_depthwise2d_forward_kernelILi5EdiEEvN5torch10headeronly6detail27GenericPackedTensorAccessorINS5_14TensorAccessorIN3c108ArrayRefIlEEKT0_Lm3ENS4_16DefaultPtrTraitsEiEENS_6detail16IndexBoundsCheckILm4EiEESC_Lm4ESD_iEENS6_INS7_ISA_SB_Lm3ESD_iEESH_SB_Lm4ESD_iEESI_NS6_INS7_ISA_SC_Lm0ESD_iEENSG_ILm1EiEESC_Lm1ESD_iEEbT1_iiiiiiiiiiiiii.kd
    .uniform_work_group_size: 1
    .uses_dynamic_stack: false
    .vgpr_count:     23
    .vgpr_spill_count: 0
    .wavefront_size: 64
  - .args:
      - .offset:         0
        .size:           40
        .value_kind:     by_value
      - .offset:         40
        .size:           40
        .value_kind:     by_value
      - .offset:         80
        .size:           40
        .value_kind:     by_value
      - .offset:         120
        .size:           16
        .value_kind:     by_value
      - .offset:         136
        .size:           1
        .value_kind:     by_value
      - .offset:         140
        .size:           4
        .value_kind:     by_value
      - .offset:         144
        .size:           4
        .value_kind:     by_value
      - .offset:         148
        .size:           4
        .value_kind:     by_value
      - .offset:         152
        .size:           4
        .value_kind:     by_value
      - .offset:         156
        .size:           4
        .value_kind:     by_value
      - .offset:         160
        .size:           4
        .value_kind:     by_value
      - .offset:         164
        .size:           4
        .value_kind:     by_value
      - .offset:         168
        .size:           4
        .value_kind:     by_value
      - .offset:         172
        .size:           4
        .value_kind:     by_value
      - .offset:         176
        .size:           4
        .value_kind:     by_value
      - .offset:         180
        .size:           4
        .value_kind:     by_value
      - .offset:         184
        .size:           4
        .value_kind:     by_value
      - .offset:         188
        .size:           4
        .value_kind:     by_value
      - .offset:         192
        .size:           4
        .value_kind:     by_value
      - .offset:         196
        .size:           4
        .value_kind:     by_value
      - .offset:         200
        .size:           4
        .value_kind:     hidden_block_count_x
      - .offset:         204
        .size:           4
        .value_kind:     hidden_block_count_y
      - .offset:         208
        .size:           4
        .value_kind:     hidden_block_count_z
      - .offset:         212
        .size:           2
        .value_kind:     hidden_group_size_x
      - .offset:         214
        .size:           2
        .value_kind:     hidden_group_size_y
      - .offset:         216
        .size:           2
        .value_kind:     hidden_group_size_z
      - .offset:         218
        .size:           2
        .value_kind:     hidden_remainder_x
      - .offset:         220
        .size:           2
        .value_kind:     hidden_remainder_y
      - .offset:         222
        .size:           2
        .value_kind:     hidden_remainder_z
      - .offset:         240
        .size:           8
        .value_kind:     hidden_global_offset_x
      - .offset:         248
        .size:           8
        .value_kind:     hidden_global_offset_y
      - .offset:         256
        .size:           8
        .value_kind:     hidden_global_offset_z
      - .offset:         264
        .size:           2
        .value_kind:     hidden_grid_dims
    .group_segment_fixed_size: 0
    .kernarg_segment_align: 8
    .kernarg_segment_size: 456
    .language:       OpenCL C
    .language_version:
      - 2
      - 0
    .max_flat_workgroup_size: 1024
    .name:           _ZN2at6native12_GLOBAL__N_131conv_depthwise2d_forward_kernelILi3EdiEEvN5torch10headeronly6detail27GenericPackedTensorAccessorINS5_14TensorAccessorIN3c108ArrayRefIlEEKT0_Lm3ENS4_16DefaultPtrTraitsEiEENS_6detail16IndexBoundsCheckILm4EiEESC_Lm4ESD_iEENS6_INS7_ISA_SB_Lm3ESD_iEESH_SB_Lm4ESD_iEESI_NS6_INS7_ISA_SC_Lm0ESD_iEENSG_ILm1EiEESC_Lm1ESD_iEEbT1_iiiiiiiiiiiiii
    .private_segment_fixed_size: 0
    .sgpr_count:     55
    .sgpr_spill_count: 0
    .symbol:         _ZN2at6native12_GLOBAL__N_131conv_depthwise2d_forward_kernelILi3EdiEEvN5torch10headeronly6detail27GenericPackedTensorAccessorINS5_14TensorAccessorIN3c108ArrayRefIlEEKT0_Lm3ENS4_16DefaultPtrTraitsEiEENS_6detail16IndexBoundsCheckILm4EiEESC_Lm4ESD_iEENS6_INS7_ISA_SB_Lm3ESD_iEESH_SB_Lm4ESD_iEESI_NS6_INS7_ISA_SC_Lm0ESD_iEENSG_ILm1EiEESC_Lm1ESD_iEEbT1_iiiiiiiiiiiiii.kd
    .uniform_work_group_size: 1
    .uses_dynamic_stack: false
    .vgpr_count:     21
    .vgpr_spill_count: 0
    .wavefront_size: 64
  - .args:
      - .offset:         0
        .size:           40
        .value_kind:     by_value
      - .offset:         40
        .size:           40
        .value_kind:     by_value
      - .offset:         80
        .size:           40
        .value_kind:     by_value
      - .offset:         120
        .size:           16
        .value_kind:     by_value
      - .offset:         136
        .size:           1
        .value_kind:     by_value
      - .offset:         140
        .size:           4
        .value_kind:     by_value
      - .offset:         144
        .size:           4
        .value_kind:     by_value
      - .offset:         148
        .size:           4
        .value_kind:     by_value
      - .offset:         152
        .size:           4
        .value_kind:     by_value
      - .offset:         156
        .size:           4
        .value_kind:     by_value
      - .offset:         160
        .size:           4
        .value_kind:     by_value
      - .offset:         164
        .size:           4
        .value_kind:     by_value
      - .offset:         168
        .size:           4
        .value_kind:     by_value
      - .offset:         172
        .size:           4
        .value_kind:     by_value
      - .offset:         176
        .size:           4
        .value_kind:     by_value
      - .offset:         180
        .size:           4
        .value_kind:     by_value
      - .offset:         184
        .size:           4
        .value_kind:     by_value
      - .offset:         188
        .size:           4
        .value_kind:     by_value
      - .offset:         192
        .size:           4
        .value_kind:     by_value
      - .offset:         196
        .size:           4
        .value_kind:     by_value
      - .offset:         200
        .size:           4
        .value_kind:     hidden_block_count_x
      - .offset:         204
        .size:           4
        .value_kind:     hidden_block_count_y
      - .offset:         208
        .size:           4
        .value_kind:     hidden_block_count_z
      - .offset:         212
        .size:           2
        .value_kind:     hidden_group_size_x
      - .offset:         214
        .size:           2
        .value_kind:     hidden_group_size_y
      - .offset:         216
        .size:           2
        .value_kind:     hidden_group_size_z
      - .offset:         218
        .size:           2
        .value_kind:     hidden_remainder_x
      - .offset:         220
        .size:           2
        .value_kind:     hidden_remainder_y
      - .offset:         222
        .size:           2
        .value_kind:     hidden_remainder_z
      - .offset:         240
        .size:           8
        .value_kind:     hidden_global_offset_x
      - .offset:         248
        .size:           8
        .value_kind:     hidden_global_offset_y
      - .offset:         256
        .size:           8
        .value_kind:     hidden_global_offset_z
      - .offset:         264
        .size:           2
        .value_kind:     hidden_grid_dims
    .group_segment_fixed_size: 0
    .kernarg_segment_align: 8
    .kernarg_segment_size: 456
    .language:       OpenCL C
    .language_version:
      - 2
      - 0
    .max_flat_workgroup_size: 1024
    .name:           _ZN2at6native12_GLOBAL__N_131conv_depthwise2d_forward_kernelILi1EdiEEvN5torch10headeronly6detail27GenericPackedTensorAccessorINS5_14TensorAccessorIN3c108ArrayRefIlEEKT0_Lm3ENS4_16DefaultPtrTraitsEiEENS_6detail16IndexBoundsCheckILm4EiEESC_Lm4ESD_iEENS6_INS7_ISA_SB_Lm3ESD_iEESH_SB_Lm4ESD_iEESI_NS6_INS7_ISA_SC_Lm0ESD_iEENSG_ILm1EiEESC_Lm1ESD_iEEbT1_iiiiiiiiiiiiii
    .private_segment_fixed_size: 0
    .sgpr_count:     51
    .sgpr_spill_count: 0
    .symbol:         _ZN2at6native12_GLOBAL__N_131conv_depthwise2d_forward_kernelILi1EdiEEvN5torch10headeronly6detail27GenericPackedTensorAccessorINS5_14TensorAccessorIN3c108ArrayRefIlEEKT0_Lm3ENS4_16DefaultPtrTraitsEiEENS_6detail16IndexBoundsCheckILm4EiEESC_Lm4ESD_iEENS6_INS7_ISA_SB_Lm3ESD_iEESH_SB_Lm4ESD_iEESI_NS6_INS7_ISA_SC_Lm0ESD_iEENSG_ILm1EiEESC_Lm1ESD_iEEbT1_iiiiiiiiiiiiii.kd
    .uniform_work_group_size: 1
    .uses_dynamic_stack: false
    .vgpr_count:     19
    .vgpr_spill_count: 0
    .wavefront_size: 64
  - .args:
      - .offset:         0
        .size:           40
        .value_kind:     by_value
      - .offset:         40
        .size:           40
        .value_kind:     by_value
      - .offset:         80
        .size:           40
        .value_kind:     by_value
      - .offset:         120
        .size:           16
        .value_kind:     by_value
      - .offset:         136
        .size:           1
        .value_kind:     by_value
      - .offset:         140
        .size:           4
        .value_kind:     by_value
      - .offset:         144
        .size:           4
        .value_kind:     by_value
      - .offset:         148
        .size:           4
        .value_kind:     by_value
      - .offset:         152
        .size:           4
        .value_kind:     by_value
      - .offset:         156
        .size:           4
        .value_kind:     by_value
      - .offset:         160
        .size:           4
        .value_kind:     by_value
      - .offset:         164
        .size:           4
        .value_kind:     by_value
      - .offset:         168
        .size:           4
        .value_kind:     by_value
      - .offset:         172
        .size:           4
        .value_kind:     by_value
      - .offset:         176
        .size:           4
        .value_kind:     by_value
      - .offset:         180
        .size:           4
        .value_kind:     by_value
      - .offset:         184
        .size:           4
        .value_kind:     by_value
      - .offset:         188
        .size:           4
        .value_kind:     by_value
      - .offset:         192
        .size:           4
        .value_kind:     by_value
      - .offset:         196
        .size:           4
        .value_kind:     by_value
      - .offset:         200
        .size:           4
        .value_kind:     hidden_block_count_x
      - .offset:         204
        .size:           4
        .value_kind:     hidden_block_count_y
      - .offset:         208
        .size:           4
        .value_kind:     hidden_block_count_z
      - .offset:         212
        .size:           2
        .value_kind:     hidden_group_size_x
      - .offset:         214
        .size:           2
        .value_kind:     hidden_group_size_y
      - .offset:         216
        .size:           2
        .value_kind:     hidden_group_size_z
      - .offset:         218
        .size:           2
        .value_kind:     hidden_remainder_x
      - .offset:         220
        .size:           2
        .value_kind:     hidden_remainder_y
      - .offset:         222
        .size:           2
        .value_kind:     hidden_remainder_z
      - .offset:         240
        .size:           8
        .value_kind:     hidden_global_offset_x
      - .offset:         248
        .size:           8
        .value_kind:     hidden_global_offset_y
      - .offset:         256
        .size:           8
        .value_kind:     hidden_global_offset_z
      - .offset:         264
        .size:           2
        .value_kind:     hidden_grid_dims
    .group_segment_fixed_size: 0
    .kernarg_segment_align: 8
    .kernarg_segment_size: 456
    .language:       OpenCL C
    .language_version:
      - 2
      - 0
    .max_flat_workgroup_size: 1024
    .name:           _ZN2at6native12_GLOBAL__N_139conv_depthwise2d_forward_kernel_genericIdiEEvN5torch10headeronly6detail27GenericPackedTensorAccessorINS5_14TensorAccessorIN3c108ArrayRefIlEEKT_Lm3ENS4_16DefaultPtrTraitsEiEENS_6detail16IndexBoundsCheckILm4EiEESC_Lm4ESD_iEENS6_INS7_ISA_SB_Lm3ESD_iEESH_SB_Lm4ESD_iEESI_NS6_INS7_ISA_SC_Lm0ESD_iEENSG_ILm1EiEESC_Lm1ESD_iEEbT0_iiiiiiiiiiiiii
    .private_segment_fixed_size: 0
    .sgpr_count:     64
    .sgpr_spill_count: 0
    .symbol:         _ZN2at6native12_GLOBAL__N_139conv_depthwise2d_forward_kernel_genericIdiEEvN5torch10headeronly6detail27GenericPackedTensorAccessorINS5_14TensorAccessorIN3c108ArrayRefIlEEKT_Lm3ENS4_16DefaultPtrTraitsEiEENS_6detail16IndexBoundsCheckILm4EiEESC_Lm4ESD_iEENS6_INS7_ISA_SB_Lm3ESD_iEESH_SB_Lm4ESD_iEESI_NS6_INS7_ISA_SC_Lm0ESD_iEENSG_ILm1EiEESC_Lm1ESD_iEEbT0_iiiiiiiiiiiiii.kd
    .uniform_work_group_size: 1
    .uses_dynamic_stack: false
    .vgpr_count:     25
    .vgpr_spill_count: 0
    .wavefront_size: 64
  - .args:
      - .offset:         0
        .size:           40
        .value_kind:     by_value
      - .offset:         40
        .size:           40
        .value_kind:     by_value
      - .offset:         80
        .size:           40
        .value_kind:     by_value
      - .offset:         120
        .size:           16
        .value_kind:     by_value
      - .offset:         136
        .size:           1
        .value_kind:     by_value
      - .offset:         140
        .size:           4
        .value_kind:     by_value
      - .offset:         144
        .size:           4
        .value_kind:     by_value
      - .offset:         148
        .size:           4
        .value_kind:     by_value
      - .offset:         152
        .size:           4
        .value_kind:     by_value
      - .offset:         156
        .size:           4
        .value_kind:     by_value
      - .offset:         160
        .size:           4
        .value_kind:     by_value
      - .offset:         164
        .size:           4
        .value_kind:     by_value
      - .offset:         168
        .size:           4
        .value_kind:     by_value
      - .offset:         172
        .size:           4
        .value_kind:     by_value
      - .offset:         176
        .size:           4
        .value_kind:     by_value
      - .offset:         180
        .size:           4
        .value_kind:     by_value
      - .offset:         184
        .size:           4
        .value_kind:     by_value
      - .offset:         188
        .size:           4
        .value_kind:     by_value
      - .offset:         192
        .size:           4
        .value_kind:     by_value
      - .offset:         196
        .size:           4
        .value_kind:     by_value
      - .offset:         200
        .size:           4
        .value_kind:     hidden_block_count_x
      - .offset:         204
        .size:           4
        .value_kind:     hidden_block_count_y
      - .offset:         208
        .size:           4
        .value_kind:     hidden_block_count_z
      - .offset:         212
        .size:           2
        .value_kind:     hidden_group_size_x
      - .offset:         214
        .size:           2
        .value_kind:     hidden_group_size_y
      - .offset:         216
        .size:           2
        .value_kind:     hidden_group_size_z
      - .offset:         218
        .size:           2
        .value_kind:     hidden_remainder_x
      - .offset:         220
        .size:           2
        .value_kind:     hidden_remainder_y
      - .offset:         222
        .size:           2
        .value_kind:     hidden_remainder_z
      - .offset:         240
        .size:           8
        .value_kind:     hidden_global_offset_x
      - .offset:         248
        .size:           8
        .value_kind:     hidden_global_offset_y
      - .offset:         256
        .size:           8
        .value_kind:     hidden_global_offset_z
      - .offset:         264
        .size:           2
        .value_kind:     hidden_grid_dims
    .group_segment_fixed_size: 0
    .kernarg_segment_align: 8
    .kernarg_segment_size: 456
    .language:       OpenCL C
    .language_version:
      - 2
      - 0
    .max_flat_workgroup_size: 1024
    .name:           _ZN2at6native12_GLOBAL__N_131conv_depthwise2d_forward_kernelILi5EfiEEvN5torch10headeronly6detail27GenericPackedTensorAccessorINS5_14TensorAccessorIN3c108ArrayRefIlEEKT0_Lm3ENS4_16DefaultPtrTraitsEiEENS_6detail16IndexBoundsCheckILm4EiEESC_Lm4ESD_iEENS6_INS7_ISA_SB_Lm3ESD_iEESH_SB_Lm4ESD_iEESI_NS6_INS7_ISA_SC_Lm0ESD_iEENSG_ILm1EiEESC_Lm1ESD_iEEbT1_iiiiiiiiiiiiii
    .private_segment_fixed_size: 0
    .sgpr_count:     55
    .sgpr_spill_count: 0
    .symbol:         _ZN2at6native12_GLOBAL__N_131conv_depthwise2d_forward_kernelILi5EfiEEvN5torch10headeronly6detail27GenericPackedTensorAccessorINS5_14TensorAccessorIN3c108ArrayRefIlEEKT0_Lm3ENS4_16DefaultPtrTraitsEiEENS_6detail16IndexBoundsCheckILm4EiEESC_Lm4ESD_iEENS6_INS7_ISA_SB_Lm3ESD_iEESH_SB_Lm4ESD_iEESI_NS6_INS7_ISA_SC_Lm0ESD_iEENSG_ILm1EiEESC_Lm1ESD_iEEbT1_iiiiiiiiiiiiii.kd
    .uniform_work_group_size: 1
    .uses_dynamic_stack: false
    .vgpr_count:     21
    .vgpr_spill_count: 0
    .wavefront_size: 64
  - .args:
      - .offset:         0
        .size:           40
        .value_kind:     by_value
      - .offset:         40
        .size:           40
        .value_kind:     by_value
      - .offset:         80
        .size:           40
        .value_kind:     by_value
      - .offset:         120
        .size:           16
        .value_kind:     by_value
      - .offset:         136
        .size:           1
        .value_kind:     by_value
      - .offset:         140
        .size:           4
        .value_kind:     by_value
      - .offset:         144
        .size:           4
        .value_kind:     by_value
      - .offset:         148
        .size:           4
        .value_kind:     by_value
      - .offset:         152
        .size:           4
        .value_kind:     by_value
      - .offset:         156
        .size:           4
        .value_kind:     by_value
      - .offset:         160
        .size:           4
        .value_kind:     by_value
      - .offset:         164
        .size:           4
        .value_kind:     by_value
      - .offset:         168
        .size:           4
        .value_kind:     by_value
      - .offset:         172
        .size:           4
        .value_kind:     by_value
      - .offset:         176
        .size:           4
        .value_kind:     by_value
      - .offset:         180
        .size:           4
        .value_kind:     by_value
      - .offset:         184
        .size:           4
        .value_kind:     by_value
      - .offset:         188
        .size:           4
        .value_kind:     by_value
      - .offset:         192
        .size:           4
        .value_kind:     by_value
      - .offset:         196
        .size:           4
        .value_kind:     by_value
      - .offset:         200
        .size:           4
        .value_kind:     hidden_block_count_x
      - .offset:         204
        .size:           4
        .value_kind:     hidden_block_count_y
      - .offset:         208
        .size:           4
        .value_kind:     hidden_block_count_z
      - .offset:         212
        .size:           2
        .value_kind:     hidden_group_size_x
      - .offset:         214
        .size:           2
        .value_kind:     hidden_group_size_y
      - .offset:         216
        .size:           2
        .value_kind:     hidden_group_size_z
      - .offset:         218
        .size:           2
        .value_kind:     hidden_remainder_x
      - .offset:         220
        .size:           2
        .value_kind:     hidden_remainder_y
      - .offset:         222
        .size:           2
        .value_kind:     hidden_remainder_z
      - .offset:         240
        .size:           8
        .value_kind:     hidden_global_offset_x
      - .offset:         248
        .size:           8
        .value_kind:     hidden_global_offset_y
      - .offset:         256
        .size:           8
        .value_kind:     hidden_global_offset_z
      - .offset:         264
        .size:           2
        .value_kind:     hidden_grid_dims
    .group_segment_fixed_size: 0
    .kernarg_segment_align: 8
    .kernarg_segment_size: 456
    .language:       OpenCL C
    .language_version:
      - 2
      - 0
    .max_flat_workgroup_size: 1024
    .name:           _ZN2at6native12_GLOBAL__N_131conv_depthwise2d_forward_kernelILi3EfiEEvN5torch10headeronly6detail27GenericPackedTensorAccessorINS5_14TensorAccessorIN3c108ArrayRefIlEEKT0_Lm3ENS4_16DefaultPtrTraitsEiEENS_6detail16IndexBoundsCheckILm4EiEESC_Lm4ESD_iEENS6_INS7_ISA_SB_Lm3ESD_iEESH_SB_Lm4ESD_iEESI_NS6_INS7_ISA_SC_Lm0ESD_iEENSG_ILm1EiEESC_Lm1ESD_iEEbT1_iiiiiiiiiiiiii
    .private_segment_fixed_size: 0
    .sgpr_count:     55
    .sgpr_spill_count: 0
    .symbol:         _ZN2at6native12_GLOBAL__N_131conv_depthwise2d_forward_kernelILi3EfiEEvN5torch10headeronly6detail27GenericPackedTensorAccessorINS5_14TensorAccessorIN3c108ArrayRefIlEEKT0_Lm3ENS4_16DefaultPtrTraitsEiEENS_6detail16IndexBoundsCheckILm4EiEESC_Lm4ESD_iEENS6_INS7_ISA_SB_Lm3ESD_iEESH_SB_Lm4ESD_iEESI_NS6_INS7_ISA_SC_Lm0ESD_iEENSG_ILm1EiEESC_Lm1ESD_iEEbT1_iiiiiiiiiiiiii.kd
    .uniform_work_group_size: 1
    .uses_dynamic_stack: false
    .vgpr_count:     19
    .vgpr_spill_count: 0
    .wavefront_size: 64
  - .args:
      - .offset:         0
        .size:           40
        .value_kind:     by_value
      - .offset:         40
        .size:           40
        .value_kind:     by_value
      - .offset:         80
        .size:           40
        .value_kind:     by_value
      - .offset:         120
        .size:           16
        .value_kind:     by_value
      - .offset:         136
        .size:           1
        .value_kind:     by_value
      - .offset:         140
        .size:           4
        .value_kind:     by_value
      - .offset:         144
        .size:           4
        .value_kind:     by_value
      - .offset:         148
        .size:           4
        .value_kind:     by_value
      - .offset:         152
        .size:           4
        .value_kind:     by_value
      - .offset:         156
        .size:           4
        .value_kind:     by_value
      - .offset:         160
        .size:           4
        .value_kind:     by_value
      - .offset:         164
        .size:           4
        .value_kind:     by_value
      - .offset:         168
        .size:           4
        .value_kind:     by_value
      - .offset:         172
        .size:           4
        .value_kind:     by_value
      - .offset:         176
        .size:           4
        .value_kind:     by_value
      - .offset:         180
        .size:           4
        .value_kind:     by_value
      - .offset:         184
        .size:           4
        .value_kind:     by_value
      - .offset:         188
        .size:           4
        .value_kind:     by_value
      - .offset:         192
        .size:           4
        .value_kind:     by_value
      - .offset:         196
        .size:           4
        .value_kind:     by_value
      - .offset:         200
        .size:           4
        .value_kind:     hidden_block_count_x
      - .offset:         204
        .size:           4
        .value_kind:     hidden_block_count_y
      - .offset:         208
        .size:           4
        .value_kind:     hidden_block_count_z
      - .offset:         212
        .size:           2
        .value_kind:     hidden_group_size_x
      - .offset:         214
        .size:           2
        .value_kind:     hidden_group_size_y
      - .offset:         216
        .size:           2
        .value_kind:     hidden_group_size_z
      - .offset:         218
        .size:           2
        .value_kind:     hidden_remainder_x
      - .offset:         220
        .size:           2
        .value_kind:     hidden_remainder_y
      - .offset:         222
        .size:           2
        .value_kind:     hidden_remainder_z
      - .offset:         240
        .size:           8
        .value_kind:     hidden_global_offset_x
      - .offset:         248
        .size:           8
        .value_kind:     hidden_global_offset_y
      - .offset:         256
        .size:           8
        .value_kind:     hidden_global_offset_z
      - .offset:         264
        .size:           2
        .value_kind:     hidden_grid_dims
    .group_segment_fixed_size: 0
    .kernarg_segment_align: 8
    .kernarg_segment_size: 456
    .language:       OpenCL C
    .language_version:
      - 2
      - 0
    .max_flat_workgroup_size: 1024
    .name:           _ZN2at6native12_GLOBAL__N_131conv_depthwise2d_forward_kernelILi1EfiEEvN5torch10headeronly6detail27GenericPackedTensorAccessorINS5_14TensorAccessorIN3c108ArrayRefIlEEKT0_Lm3ENS4_16DefaultPtrTraitsEiEENS_6detail16IndexBoundsCheckILm4EiEESC_Lm4ESD_iEENS6_INS7_ISA_SB_Lm3ESD_iEESH_SB_Lm4ESD_iEESI_NS6_INS7_ISA_SC_Lm0ESD_iEENSG_ILm1EiEESC_Lm1ESD_iEEbT1_iiiiiiiiiiiiii
    .private_segment_fixed_size: 0
    .sgpr_count:     51
    .sgpr_spill_count: 0
    .symbol:         _ZN2at6native12_GLOBAL__N_131conv_depthwise2d_forward_kernelILi1EfiEEvN5torch10headeronly6detail27GenericPackedTensorAccessorINS5_14TensorAccessorIN3c108ArrayRefIlEEKT0_Lm3ENS4_16DefaultPtrTraitsEiEENS_6detail16IndexBoundsCheckILm4EiEESC_Lm4ESD_iEENS6_INS7_ISA_SB_Lm3ESD_iEESH_SB_Lm4ESD_iEESI_NS6_INS7_ISA_SC_Lm0ESD_iEENSG_ILm1EiEESC_Lm1ESD_iEEbT1_iiiiiiiiiiiiii.kd
    .uniform_work_group_size: 1
    .uses_dynamic_stack: false
    .vgpr_count:     18
    .vgpr_spill_count: 0
    .wavefront_size: 64
  - .args:
      - .offset:         0
        .size:           40
        .value_kind:     by_value
      - .offset:         40
        .size:           40
        .value_kind:     by_value
      - .offset:         80
        .size:           40
        .value_kind:     by_value
      - .offset:         120
        .size:           16
        .value_kind:     by_value
      - .offset:         136
        .size:           1
        .value_kind:     by_value
      - .offset:         140
        .size:           4
        .value_kind:     by_value
      - .offset:         144
        .size:           4
        .value_kind:     by_value
      - .offset:         148
        .size:           4
        .value_kind:     by_value
      - .offset:         152
        .size:           4
        .value_kind:     by_value
      - .offset:         156
        .size:           4
        .value_kind:     by_value
      - .offset:         160
        .size:           4
        .value_kind:     by_value
      - .offset:         164
        .size:           4
        .value_kind:     by_value
      - .offset:         168
        .size:           4
        .value_kind:     by_value
      - .offset:         172
        .size:           4
        .value_kind:     by_value
      - .offset:         176
        .size:           4
        .value_kind:     by_value
      - .offset:         180
        .size:           4
        .value_kind:     by_value
      - .offset:         184
        .size:           4
        .value_kind:     by_value
      - .offset:         188
        .size:           4
        .value_kind:     by_value
      - .offset:         192
        .size:           4
        .value_kind:     by_value
      - .offset:         196
        .size:           4
        .value_kind:     by_value
      - .offset:         200
        .size:           4
        .value_kind:     hidden_block_count_x
      - .offset:         204
        .size:           4
        .value_kind:     hidden_block_count_y
      - .offset:         208
        .size:           4
        .value_kind:     hidden_block_count_z
      - .offset:         212
        .size:           2
        .value_kind:     hidden_group_size_x
      - .offset:         214
        .size:           2
        .value_kind:     hidden_group_size_y
      - .offset:         216
        .size:           2
        .value_kind:     hidden_group_size_z
      - .offset:         218
        .size:           2
        .value_kind:     hidden_remainder_x
      - .offset:         220
        .size:           2
        .value_kind:     hidden_remainder_y
      - .offset:         222
        .size:           2
        .value_kind:     hidden_remainder_z
      - .offset:         240
        .size:           8
        .value_kind:     hidden_global_offset_x
      - .offset:         248
        .size:           8
        .value_kind:     hidden_global_offset_y
      - .offset:         256
        .size:           8
        .value_kind:     hidden_global_offset_z
      - .offset:         264
        .size:           2
        .value_kind:     hidden_grid_dims
    .group_segment_fixed_size: 0
    .kernarg_segment_align: 8
    .kernarg_segment_size: 456
    .language:       OpenCL C
    .language_version:
      - 2
      - 0
    .max_flat_workgroup_size: 1024
    .name:           _ZN2at6native12_GLOBAL__N_139conv_depthwise2d_forward_kernel_genericIfiEEvN5torch10headeronly6detail27GenericPackedTensorAccessorINS5_14TensorAccessorIN3c108ArrayRefIlEEKT_Lm3ENS4_16DefaultPtrTraitsEiEENS_6detail16IndexBoundsCheckILm4EiEESC_Lm4ESD_iEENS6_INS7_ISA_SB_Lm3ESD_iEESH_SB_Lm4ESD_iEESI_NS6_INS7_ISA_SC_Lm0ESD_iEENSG_ILm1EiEESC_Lm1ESD_iEEbT0_iiiiiiiiiiiiii
    .private_segment_fixed_size: 0
    .sgpr_count:     64
    .sgpr_spill_count: 0
    .symbol:         _ZN2at6native12_GLOBAL__N_139conv_depthwise2d_forward_kernel_genericIfiEEvN5torch10headeronly6detail27GenericPackedTensorAccessorINS5_14TensorAccessorIN3c108ArrayRefIlEEKT_Lm3ENS4_16DefaultPtrTraitsEiEENS_6detail16IndexBoundsCheckILm4EiEESC_Lm4ESD_iEENS6_INS7_ISA_SB_Lm3ESD_iEESH_SB_Lm4ESD_iEESI_NS6_INS7_ISA_SC_Lm0ESD_iEENSG_ILm1EiEESC_Lm1ESD_iEEbT0_iiiiiiiiiiiiii.kd
    .uniform_work_group_size: 1
    .uses_dynamic_stack: false
    .vgpr_count:     23
    .vgpr_spill_count: 0
    .wavefront_size: 64
  - .args:
      - .offset:         0
        .size:           40
        .value_kind:     by_value
      - .offset:         40
        .size:           40
        .value_kind:     by_value
      - .offset:         80
        .size:           40
        .value_kind:     by_value
      - .offset:         120
        .size:           16
        .value_kind:     by_value
      - .offset:         136
        .size:           1
        .value_kind:     by_value
      - .offset:         140
        .size:           4
        .value_kind:     by_value
      - .offset:         144
        .size:           4
        .value_kind:     by_value
      - .offset:         148
        .size:           4
        .value_kind:     by_value
      - .offset:         152
        .size:           4
        .value_kind:     by_value
      - .offset:         156
        .size:           4
        .value_kind:     by_value
      - .offset:         160
        .size:           4
        .value_kind:     by_value
      - .offset:         164
        .size:           4
        .value_kind:     by_value
      - .offset:         168
        .size:           4
        .value_kind:     by_value
      - .offset:         172
        .size:           4
        .value_kind:     by_value
      - .offset:         176
        .size:           4
        .value_kind:     by_value
      - .offset:         180
        .size:           4
        .value_kind:     by_value
      - .offset:         184
        .size:           4
        .value_kind:     by_value
      - .offset:         188
        .size:           4
        .value_kind:     by_value
      - .offset:         192
        .size:           4
        .value_kind:     by_value
      - .offset:         196
        .size:           4
        .value_kind:     by_value
      - .offset:         200
        .size:           4
        .value_kind:     hidden_block_count_x
      - .offset:         204
        .size:           4
        .value_kind:     hidden_block_count_y
      - .offset:         208
        .size:           4
        .value_kind:     hidden_block_count_z
      - .offset:         212
        .size:           2
        .value_kind:     hidden_group_size_x
      - .offset:         214
        .size:           2
        .value_kind:     hidden_group_size_y
      - .offset:         216
        .size:           2
        .value_kind:     hidden_group_size_z
      - .offset:         218
        .size:           2
        .value_kind:     hidden_remainder_x
      - .offset:         220
        .size:           2
        .value_kind:     hidden_remainder_y
      - .offset:         222
        .size:           2
        .value_kind:     hidden_remainder_z
      - .offset:         240
        .size:           8
        .value_kind:     hidden_global_offset_x
      - .offset:         248
        .size:           8
        .value_kind:     hidden_global_offset_y
      - .offset:         256
        .size:           8
        .value_kind:     hidden_global_offset_z
      - .offset:         264
        .size:           2
        .value_kind:     hidden_grid_dims
    .group_segment_fixed_size: 0
    .kernarg_segment_align: 8
    .kernarg_segment_size: 456
    .language:       OpenCL C
    .language_version:
      - 2
      - 0
    .max_flat_workgroup_size: 1024
    .name:           _ZN2at6native12_GLOBAL__N_131conv_depthwise2d_forward_kernelILi5EN3c104HalfEiEEvN5torch10headeronly6detail27GenericPackedTensorAccessorINS7_14TensorAccessorINS3_8ArrayRefIlEEKT0_Lm3ENS6_16DefaultPtrTraitsEiEENS_6detail16IndexBoundsCheckILm4EiEESD_Lm4ESE_iEENS8_INS9_ISB_SC_Lm3ESE_iEESI_SC_Lm4ESE_iEESJ_NS8_INS9_ISB_SD_Lm0ESE_iEENSH_ILm1EiEESD_Lm1ESE_iEEbT1_iiiiiiiiiiiiii
    .private_segment_fixed_size: 0
    .sgpr_count:     55
    .sgpr_spill_count: 0
    .symbol:         _ZN2at6native12_GLOBAL__N_131conv_depthwise2d_forward_kernelILi5EN3c104HalfEiEEvN5torch10headeronly6detail27GenericPackedTensorAccessorINS7_14TensorAccessorINS3_8ArrayRefIlEEKT0_Lm3ENS6_16DefaultPtrTraitsEiEENS_6detail16IndexBoundsCheckILm4EiEESD_Lm4ESE_iEENS8_INS9_ISB_SC_Lm3ESE_iEESI_SC_Lm4ESE_iEESJ_NS8_INS9_ISB_SD_Lm0ESE_iEENSH_ILm1EiEESD_Lm1ESE_iEEbT1_iiiiiiiiiiiiii.kd
    .uniform_work_group_size: 1
    .uses_dynamic_stack: false
    .vgpr_count:     21
    .vgpr_spill_count: 0
    .wavefront_size: 64
  - .args:
      - .offset:         0
        .size:           40
        .value_kind:     by_value
      - .offset:         40
        .size:           40
        .value_kind:     by_value
      - .offset:         80
        .size:           40
        .value_kind:     by_value
      - .offset:         120
        .size:           16
        .value_kind:     by_value
      - .offset:         136
        .size:           1
        .value_kind:     by_value
      - .offset:         140
        .size:           4
        .value_kind:     by_value
      - .offset:         144
        .size:           4
        .value_kind:     by_value
      - .offset:         148
        .size:           4
        .value_kind:     by_value
      - .offset:         152
        .size:           4
        .value_kind:     by_value
      - .offset:         156
        .size:           4
        .value_kind:     by_value
      - .offset:         160
        .size:           4
        .value_kind:     by_value
      - .offset:         164
        .size:           4
        .value_kind:     by_value
      - .offset:         168
        .size:           4
        .value_kind:     by_value
      - .offset:         172
        .size:           4
        .value_kind:     by_value
      - .offset:         176
        .size:           4
        .value_kind:     by_value
      - .offset:         180
        .size:           4
        .value_kind:     by_value
      - .offset:         184
        .size:           4
        .value_kind:     by_value
      - .offset:         188
        .size:           4
        .value_kind:     by_value
      - .offset:         192
        .size:           4
        .value_kind:     by_value
      - .offset:         196
        .size:           4
        .value_kind:     by_value
      - .offset:         200
        .size:           4
        .value_kind:     hidden_block_count_x
      - .offset:         204
        .size:           4
        .value_kind:     hidden_block_count_y
      - .offset:         208
        .size:           4
        .value_kind:     hidden_block_count_z
      - .offset:         212
        .size:           2
        .value_kind:     hidden_group_size_x
      - .offset:         214
        .size:           2
        .value_kind:     hidden_group_size_y
      - .offset:         216
        .size:           2
        .value_kind:     hidden_group_size_z
      - .offset:         218
        .size:           2
        .value_kind:     hidden_remainder_x
      - .offset:         220
        .size:           2
        .value_kind:     hidden_remainder_y
      - .offset:         222
        .size:           2
        .value_kind:     hidden_remainder_z
      - .offset:         240
        .size:           8
        .value_kind:     hidden_global_offset_x
      - .offset:         248
        .size:           8
        .value_kind:     hidden_global_offset_y
      - .offset:         256
        .size:           8
        .value_kind:     hidden_global_offset_z
      - .offset:         264
        .size:           2
        .value_kind:     hidden_grid_dims
    .group_segment_fixed_size: 0
    .kernarg_segment_align: 8
    .kernarg_segment_size: 456
    .language:       OpenCL C
    .language_version:
      - 2
      - 0
    .max_flat_workgroup_size: 1024
    .name:           _ZN2at6native12_GLOBAL__N_131conv_depthwise2d_forward_kernelILi3EN3c104HalfEiEEvN5torch10headeronly6detail27GenericPackedTensorAccessorINS7_14TensorAccessorINS3_8ArrayRefIlEEKT0_Lm3ENS6_16DefaultPtrTraitsEiEENS_6detail16IndexBoundsCheckILm4EiEESD_Lm4ESE_iEENS8_INS9_ISB_SC_Lm3ESE_iEESI_SC_Lm4ESE_iEESJ_NS8_INS9_ISB_SD_Lm0ESE_iEENSH_ILm1EiEESD_Lm1ESE_iEEbT1_iiiiiiiiiiiiii
    .private_segment_fixed_size: 0
    .sgpr_count:     55
    .sgpr_spill_count: 0
    .symbol:         _ZN2at6native12_GLOBAL__N_131conv_depthwise2d_forward_kernelILi3EN3c104HalfEiEEvN5torch10headeronly6detail27GenericPackedTensorAccessorINS7_14TensorAccessorINS3_8ArrayRefIlEEKT0_Lm3ENS6_16DefaultPtrTraitsEiEENS_6detail16IndexBoundsCheckILm4EiEESD_Lm4ESE_iEENS8_INS9_ISB_SC_Lm3ESE_iEESI_SC_Lm4ESE_iEESJ_NS8_INS9_ISB_SD_Lm0ESE_iEENSH_ILm1EiEESD_Lm1ESE_iEEbT1_iiiiiiiiiiiiii.kd
    .uniform_work_group_size: 1
    .uses_dynamic_stack: false
    .vgpr_count:     19
    .vgpr_spill_count: 0
    .wavefront_size: 64
  - .args:
      - .offset:         0
        .size:           40
        .value_kind:     by_value
      - .offset:         40
        .size:           40
        .value_kind:     by_value
      - .offset:         80
        .size:           40
        .value_kind:     by_value
      - .offset:         120
        .size:           16
        .value_kind:     by_value
      - .offset:         136
        .size:           1
        .value_kind:     by_value
      - .offset:         140
        .size:           4
        .value_kind:     by_value
      - .offset:         144
        .size:           4
        .value_kind:     by_value
      - .offset:         148
        .size:           4
        .value_kind:     by_value
      - .offset:         152
        .size:           4
        .value_kind:     by_value
      - .offset:         156
        .size:           4
        .value_kind:     by_value
      - .offset:         160
        .size:           4
        .value_kind:     by_value
      - .offset:         164
        .size:           4
        .value_kind:     by_value
      - .offset:         168
        .size:           4
        .value_kind:     by_value
      - .offset:         172
        .size:           4
        .value_kind:     by_value
      - .offset:         176
        .size:           4
        .value_kind:     by_value
      - .offset:         180
        .size:           4
        .value_kind:     by_value
      - .offset:         184
        .size:           4
        .value_kind:     by_value
      - .offset:         188
        .size:           4
        .value_kind:     by_value
      - .offset:         192
        .size:           4
        .value_kind:     by_value
      - .offset:         196
        .size:           4
        .value_kind:     by_value
      - .offset:         200
        .size:           4
        .value_kind:     hidden_block_count_x
      - .offset:         204
        .size:           4
        .value_kind:     hidden_block_count_y
      - .offset:         208
        .size:           4
        .value_kind:     hidden_block_count_z
      - .offset:         212
        .size:           2
        .value_kind:     hidden_group_size_x
      - .offset:         214
        .size:           2
        .value_kind:     hidden_group_size_y
      - .offset:         216
        .size:           2
        .value_kind:     hidden_group_size_z
      - .offset:         218
        .size:           2
        .value_kind:     hidden_remainder_x
      - .offset:         220
        .size:           2
        .value_kind:     hidden_remainder_y
      - .offset:         222
        .size:           2
        .value_kind:     hidden_remainder_z
      - .offset:         240
        .size:           8
        .value_kind:     hidden_global_offset_x
      - .offset:         248
        .size:           8
        .value_kind:     hidden_global_offset_y
      - .offset:         256
        .size:           8
        .value_kind:     hidden_global_offset_z
      - .offset:         264
        .size:           2
        .value_kind:     hidden_grid_dims
    .group_segment_fixed_size: 0
    .kernarg_segment_align: 8
    .kernarg_segment_size: 456
    .language:       OpenCL C
    .language_version:
      - 2
      - 0
    .max_flat_workgroup_size: 1024
    .name:           _ZN2at6native12_GLOBAL__N_131conv_depthwise2d_forward_kernelILi1EN3c104HalfEiEEvN5torch10headeronly6detail27GenericPackedTensorAccessorINS7_14TensorAccessorINS3_8ArrayRefIlEEKT0_Lm3ENS6_16DefaultPtrTraitsEiEENS_6detail16IndexBoundsCheckILm4EiEESD_Lm4ESE_iEENS8_INS9_ISB_SC_Lm3ESE_iEESI_SC_Lm4ESE_iEESJ_NS8_INS9_ISB_SD_Lm0ESE_iEENSH_ILm1EiEESD_Lm1ESE_iEEbT1_iiiiiiiiiiiiii
    .private_segment_fixed_size: 0
    .sgpr_count:     51
    .sgpr_spill_count: 0
    .symbol:         _ZN2at6native12_GLOBAL__N_131conv_depthwise2d_forward_kernelILi1EN3c104HalfEiEEvN5torch10headeronly6detail27GenericPackedTensorAccessorINS7_14TensorAccessorINS3_8ArrayRefIlEEKT0_Lm3ENS6_16DefaultPtrTraitsEiEENS_6detail16IndexBoundsCheckILm4EiEESD_Lm4ESE_iEENS8_INS9_ISB_SC_Lm3ESE_iEESI_SC_Lm4ESE_iEESJ_NS8_INS9_ISB_SD_Lm0ESE_iEENSH_ILm1EiEESD_Lm1ESE_iEEbT1_iiiiiiiiiiiiii.kd
    .uniform_work_group_size: 1
    .uses_dynamic_stack: false
    .vgpr_count:     18
    .vgpr_spill_count: 0
    .wavefront_size: 64
  - .args:
      - .offset:         0
        .size:           40
        .value_kind:     by_value
      - .offset:         40
        .size:           40
        .value_kind:     by_value
      - .offset:         80
        .size:           40
        .value_kind:     by_value
      - .offset:         120
        .size:           16
        .value_kind:     by_value
      - .offset:         136
        .size:           1
        .value_kind:     by_value
      - .offset:         140
        .size:           4
        .value_kind:     by_value
      - .offset:         144
        .size:           4
        .value_kind:     by_value
      - .offset:         148
        .size:           4
        .value_kind:     by_value
      - .offset:         152
        .size:           4
        .value_kind:     by_value
      - .offset:         156
        .size:           4
        .value_kind:     by_value
      - .offset:         160
        .size:           4
        .value_kind:     by_value
      - .offset:         164
        .size:           4
        .value_kind:     by_value
      - .offset:         168
        .size:           4
        .value_kind:     by_value
      - .offset:         172
        .size:           4
        .value_kind:     by_value
      - .offset:         176
        .size:           4
        .value_kind:     by_value
      - .offset:         180
        .size:           4
        .value_kind:     by_value
      - .offset:         184
        .size:           4
        .value_kind:     by_value
      - .offset:         188
        .size:           4
        .value_kind:     by_value
      - .offset:         192
        .size:           4
        .value_kind:     by_value
      - .offset:         196
        .size:           4
        .value_kind:     by_value
      - .offset:         200
        .size:           4
        .value_kind:     hidden_block_count_x
      - .offset:         204
        .size:           4
        .value_kind:     hidden_block_count_y
      - .offset:         208
        .size:           4
        .value_kind:     hidden_block_count_z
      - .offset:         212
        .size:           2
        .value_kind:     hidden_group_size_x
      - .offset:         214
        .size:           2
        .value_kind:     hidden_group_size_y
      - .offset:         216
        .size:           2
        .value_kind:     hidden_group_size_z
      - .offset:         218
        .size:           2
        .value_kind:     hidden_remainder_x
      - .offset:         220
        .size:           2
        .value_kind:     hidden_remainder_y
      - .offset:         222
        .size:           2
        .value_kind:     hidden_remainder_z
      - .offset:         240
        .size:           8
        .value_kind:     hidden_global_offset_x
      - .offset:         248
        .size:           8
        .value_kind:     hidden_global_offset_y
      - .offset:         256
        .size:           8
        .value_kind:     hidden_global_offset_z
      - .offset:         264
        .size:           2
        .value_kind:     hidden_grid_dims
    .group_segment_fixed_size: 0
    .kernarg_segment_align: 8
    .kernarg_segment_size: 456
    .language:       OpenCL C
    .language_version:
      - 2
      - 0
    .max_flat_workgroup_size: 1024
    .name:           _ZN2at6native12_GLOBAL__N_139conv_depthwise2d_forward_kernel_genericIN3c104HalfEiEEvN5torch10headeronly6detail27GenericPackedTensorAccessorINS7_14TensorAccessorINS3_8ArrayRefIlEEKT_Lm3ENS6_16DefaultPtrTraitsEiEENS_6detail16IndexBoundsCheckILm4EiEESD_Lm4ESE_iEENS8_INS9_ISB_SC_Lm3ESE_iEESI_SC_Lm4ESE_iEESJ_NS8_INS9_ISB_SD_Lm0ESE_iEENSH_ILm1EiEESD_Lm1ESE_iEEbT0_iiiiiiiiiiiiii
    .private_segment_fixed_size: 0
    .sgpr_count:     64
    .sgpr_spill_count: 0
    .symbol:         _ZN2at6native12_GLOBAL__N_139conv_depthwise2d_forward_kernel_genericIN3c104HalfEiEEvN5torch10headeronly6detail27GenericPackedTensorAccessorINS7_14TensorAccessorINS3_8ArrayRefIlEEKT_Lm3ENS6_16DefaultPtrTraitsEiEENS_6detail16IndexBoundsCheckILm4EiEESD_Lm4ESE_iEENS8_INS9_ISB_SC_Lm3ESE_iEESI_SC_Lm4ESE_iEESJ_NS8_INS9_ISB_SD_Lm0ESE_iEENSH_ILm1EiEESD_Lm1ESE_iEEbT0_iiiiiiiiiiiiii.kd
    .uniform_work_group_size: 1
    .uses_dynamic_stack: false
    .vgpr_count:     23
    .vgpr_spill_count: 0
    .wavefront_size: 64
  - .args:
      - .offset:         0
        .size:           40
        .value_kind:     by_value
      - .offset:         40
        .size:           40
        .value_kind:     by_value
      - .offset:         80
        .size:           40
        .value_kind:     by_value
      - .offset:         120
        .size:           16
        .value_kind:     by_value
      - .offset:         136
        .size:           1
        .value_kind:     by_value
      - .offset:         140
        .size:           4
        .value_kind:     by_value
      - .offset:         144
        .size:           4
        .value_kind:     by_value
      - .offset:         148
        .size:           4
        .value_kind:     by_value
      - .offset:         152
        .size:           4
        .value_kind:     by_value
      - .offset:         156
        .size:           4
        .value_kind:     by_value
      - .offset:         160
        .size:           4
        .value_kind:     by_value
      - .offset:         164
        .size:           4
        .value_kind:     by_value
      - .offset:         168
        .size:           4
        .value_kind:     by_value
      - .offset:         172
        .size:           4
        .value_kind:     by_value
      - .offset:         176
        .size:           4
        .value_kind:     by_value
      - .offset:         180
        .size:           4
        .value_kind:     by_value
      - .offset:         184
        .size:           4
        .value_kind:     by_value
      - .offset:         188
        .size:           4
        .value_kind:     by_value
      - .offset:         192
        .size:           4
        .value_kind:     by_value
      - .offset:         196
        .size:           4
        .value_kind:     by_value
      - .offset:         200
        .size:           4
        .value_kind:     hidden_block_count_x
      - .offset:         204
        .size:           4
        .value_kind:     hidden_block_count_y
      - .offset:         208
        .size:           4
        .value_kind:     hidden_block_count_z
      - .offset:         212
        .size:           2
        .value_kind:     hidden_group_size_x
      - .offset:         214
        .size:           2
        .value_kind:     hidden_group_size_y
      - .offset:         216
        .size:           2
        .value_kind:     hidden_group_size_z
      - .offset:         218
        .size:           2
        .value_kind:     hidden_remainder_x
      - .offset:         220
        .size:           2
        .value_kind:     hidden_remainder_y
      - .offset:         222
        .size:           2
        .value_kind:     hidden_remainder_z
      - .offset:         240
        .size:           8
        .value_kind:     hidden_global_offset_x
      - .offset:         248
        .size:           8
        .value_kind:     hidden_global_offset_y
      - .offset:         256
        .size:           8
        .value_kind:     hidden_global_offset_z
      - .offset:         264
        .size:           2
        .value_kind:     hidden_grid_dims
    .group_segment_fixed_size: 0
    .kernarg_segment_align: 8
    .kernarg_segment_size: 456
    .language:       OpenCL C
    .language_version:
      - 2
      - 0
    .max_flat_workgroup_size: 1024
    .name:           _ZN2at6native12_GLOBAL__N_131conv_depthwise2d_forward_kernelILi5EN3c108BFloat16EiEEvN5torch10headeronly6detail27GenericPackedTensorAccessorINS7_14TensorAccessorINS3_8ArrayRefIlEEKT0_Lm3ENS6_16DefaultPtrTraitsEiEENS_6detail16IndexBoundsCheckILm4EiEESD_Lm4ESE_iEENS8_INS9_ISB_SC_Lm3ESE_iEESI_SC_Lm4ESE_iEESJ_NS8_INS9_ISB_SD_Lm0ESE_iEENSH_ILm1EiEESD_Lm1ESE_iEEbT1_iiiiiiiiiiiiii
    .private_segment_fixed_size: 0
    .sgpr_count:     55
    .sgpr_spill_count: 0
    .symbol:         _ZN2at6native12_GLOBAL__N_131conv_depthwise2d_forward_kernelILi5EN3c108BFloat16EiEEvN5torch10headeronly6detail27GenericPackedTensorAccessorINS7_14TensorAccessorINS3_8ArrayRefIlEEKT0_Lm3ENS6_16DefaultPtrTraitsEiEENS_6detail16IndexBoundsCheckILm4EiEESD_Lm4ESE_iEENS8_INS9_ISB_SC_Lm3ESE_iEESI_SC_Lm4ESE_iEESJ_NS8_INS9_ISB_SD_Lm0ESE_iEENSH_ILm1EiEESD_Lm1ESE_iEEbT1_iiiiiiiiiiiiii.kd
    .uniform_work_group_size: 1
    .uses_dynamic_stack: false
    .vgpr_count:     24
    .vgpr_spill_count: 0
    .wavefront_size: 64
  - .args:
      - .offset:         0
        .size:           40
        .value_kind:     by_value
      - .offset:         40
        .size:           40
        .value_kind:     by_value
      - .offset:         80
        .size:           40
        .value_kind:     by_value
      - .offset:         120
        .size:           16
        .value_kind:     by_value
      - .offset:         136
        .size:           1
        .value_kind:     by_value
      - .offset:         140
        .size:           4
        .value_kind:     by_value
      - .offset:         144
        .size:           4
        .value_kind:     by_value
      - .offset:         148
        .size:           4
        .value_kind:     by_value
      - .offset:         152
        .size:           4
        .value_kind:     by_value
      - .offset:         156
        .size:           4
        .value_kind:     by_value
      - .offset:         160
        .size:           4
        .value_kind:     by_value
      - .offset:         164
        .size:           4
        .value_kind:     by_value
      - .offset:         168
        .size:           4
        .value_kind:     by_value
      - .offset:         172
        .size:           4
        .value_kind:     by_value
      - .offset:         176
        .size:           4
        .value_kind:     by_value
      - .offset:         180
        .size:           4
        .value_kind:     by_value
      - .offset:         184
        .size:           4
        .value_kind:     by_value
      - .offset:         188
        .size:           4
        .value_kind:     by_value
      - .offset:         192
        .size:           4
        .value_kind:     by_value
      - .offset:         196
        .size:           4
        .value_kind:     by_value
      - .offset:         200
        .size:           4
        .value_kind:     hidden_block_count_x
      - .offset:         204
        .size:           4
        .value_kind:     hidden_block_count_y
      - .offset:         208
        .size:           4
        .value_kind:     hidden_block_count_z
      - .offset:         212
        .size:           2
        .value_kind:     hidden_group_size_x
      - .offset:         214
        .size:           2
        .value_kind:     hidden_group_size_y
      - .offset:         216
        .size:           2
        .value_kind:     hidden_group_size_z
      - .offset:         218
        .size:           2
        .value_kind:     hidden_remainder_x
      - .offset:         220
        .size:           2
        .value_kind:     hidden_remainder_y
      - .offset:         222
        .size:           2
        .value_kind:     hidden_remainder_z
      - .offset:         240
        .size:           8
        .value_kind:     hidden_global_offset_x
      - .offset:         248
        .size:           8
        .value_kind:     hidden_global_offset_y
      - .offset:         256
        .size:           8
        .value_kind:     hidden_global_offset_z
      - .offset:         264
        .size:           2
        .value_kind:     hidden_grid_dims
    .group_segment_fixed_size: 0
    .kernarg_segment_align: 8
    .kernarg_segment_size: 456
    .language:       OpenCL C
    .language_version:
      - 2
      - 0
    .max_flat_workgroup_size: 1024
    .name:           _ZN2at6native12_GLOBAL__N_131conv_depthwise2d_forward_kernelILi3EN3c108BFloat16EiEEvN5torch10headeronly6detail27GenericPackedTensorAccessorINS7_14TensorAccessorINS3_8ArrayRefIlEEKT0_Lm3ENS6_16DefaultPtrTraitsEiEENS_6detail16IndexBoundsCheckILm4EiEESD_Lm4ESE_iEENS8_INS9_ISB_SC_Lm3ESE_iEESI_SC_Lm4ESE_iEESJ_NS8_INS9_ISB_SD_Lm0ESE_iEENSH_ILm1EiEESD_Lm1ESE_iEEbT1_iiiiiiiiiiiiii
    .private_segment_fixed_size: 0
    .sgpr_count:     55
    .sgpr_spill_count: 0
    .symbol:         _ZN2at6native12_GLOBAL__N_131conv_depthwise2d_forward_kernelILi3EN3c108BFloat16EiEEvN5torch10headeronly6detail27GenericPackedTensorAccessorINS7_14TensorAccessorINS3_8ArrayRefIlEEKT0_Lm3ENS6_16DefaultPtrTraitsEiEENS_6detail16IndexBoundsCheckILm4EiEESD_Lm4ESE_iEENS8_INS9_ISB_SC_Lm3ESE_iEESI_SC_Lm4ESE_iEESJ_NS8_INS9_ISB_SD_Lm0ESE_iEENSH_ILm1EiEESD_Lm1ESE_iEEbT1_iiiiiiiiiiiiii.kd
    .uniform_work_group_size: 1
    .uses_dynamic_stack: false
    .vgpr_count:     22
    .vgpr_spill_count: 0
    .wavefront_size: 64
  - .args:
      - .offset:         0
        .size:           40
        .value_kind:     by_value
      - .offset:         40
        .size:           40
        .value_kind:     by_value
      - .offset:         80
        .size:           40
        .value_kind:     by_value
      - .offset:         120
        .size:           16
        .value_kind:     by_value
      - .offset:         136
        .size:           1
        .value_kind:     by_value
      - .offset:         140
        .size:           4
        .value_kind:     by_value
      - .offset:         144
        .size:           4
        .value_kind:     by_value
      - .offset:         148
        .size:           4
        .value_kind:     by_value
      - .offset:         152
        .size:           4
        .value_kind:     by_value
      - .offset:         156
        .size:           4
        .value_kind:     by_value
      - .offset:         160
        .size:           4
        .value_kind:     by_value
      - .offset:         164
        .size:           4
        .value_kind:     by_value
      - .offset:         168
        .size:           4
        .value_kind:     by_value
      - .offset:         172
        .size:           4
        .value_kind:     by_value
      - .offset:         176
        .size:           4
        .value_kind:     by_value
      - .offset:         180
        .size:           4
        .value_kind:     by_value
      - .offset:         184
        .size:           4
        .value_kind:     by_value
      - .offset:         188
        .size:           4
        .value_kind:     by_value
      - .offset:         192
        .size:           4
        .value_kind:     by_value
      - .offset:         196
        .size:           4
        .value_kind:     by_value
      - .offset:         200
        .size:           4
        .value_kind:     hidden_block_count_x
      - .offset:         204
        .size:           4
        .value_kind:     hidden_block_count_y
      - .offset:         208
        .size:           4
        .value_kind:     hidden_block_count_z
      - .offset:         212
        .size:           2
        .value_kind:     hidden_group_size_x
      - .offset:         214
        .size:           2
        .value_kind:     hidden_group_size_y
      - .offset:         216
        .size:           2
        .value_kind:     hidden_group_size_z
      - .offset:         218
        .size:           2
        .value_kind:     hidden_remainder_x
      - .offset:         220
        .size:           2
        .value_kind:     hidden_remainder_y
      - .offset:         222
        .size:           2
        .value_kind:     hidden_remainder_z
      - .offset:         240
        .size:           8
        .value_kind:     hidden_global_offset_x
      - .offset:         248
        .size:           8
        .value_kind:     hidden_global_offset_y
      - .offset:         256
        .size:           8
        .value_kind:     hidden_global_offset_z
      - .offset:         264
        .size:           2
        .value_kind:     hidden_grid_dims
    .group_segment_fixed_size: 0
    .kernarg_segment_align: 8
    .kernarg_segment_size: 456
    .language:       OpenCL C
    .language_version:
      - 2
      - 0
    .max_flat_workgroup_size: 1024
    .name:           _ZN2at6native12_GLOBAL__N_131conv_depthwise2d_forward_kernelILi1EN3c108BFloat16EiEEvN5torch10headeronly6detail27GenericPackedTensorAccessorINS7_14TensorAccessorINS3_8ArrayRefIlEEKT0_Lm3ENS6_16DefaultPtrTraitsEiEENS_6detail16IndexBoundsCheckILm4EiEESD_Lm4ESE_iEENS8_INS9_ISB_SC_Lm3ESE_iEESI_SC_Lm4ESE_iEESJ_NS8_INS9_ISB_SD_Lm0ESE_iEENSH_ILm1EiEESD_Lm1ESE_iEEbT1_iiiiiiiiiiiiii
    .private_segment_fixed_size: 0
    .sgpr_count:     52
    .sgpr_spill_count: 0
    .symbol:         _ZN2at6native12_GLOBAL__N_131conv_depthwise2d_forward_kernelILi1EN3c108BFloat16EiEEvN5torch10headeronly6detail27GenericPackedTensorAccessorINS7_14TensorAccessorINS3_8ArrayRefIlEEKT0_Lm3ENS6_16DefaultPtrTraitsEiEENS_6detail16IndexBoundsCheckILm4EiEESD_Lm4ESE_iEENS8_INS9_ISB_SC_Lm3ESE_iEESI_SC_Lm4ESE_iEESJ_NS8_INS9_ISB_SD_Lm0ESE_iEENSH_ILm1EiEESD_Lm1ESE_iEEbT1_iiiiiiiiiiiiii.kd
    .uniform_work_group_size: 1
    .uses_dynamic_stack: false
    .vgpr_count:     19
    .vgpr_spill_count: 0
    .wavefront_size: 64
  - .args:
      - .offset:         0
        .size:           40
        .value_kind:     by_value
      - .offset:         40
        .size:           40
        .value_kind:     by_value
      - .offset:         80
        .size:           40
        .value_kind:     by_value
      - .offset:         120
        .size:           16
        .value_kind:     by_value
      - .offset:         136
        .size:           1
        .value_kind:     by_value
      - .offset:         140
        .size:           4
        .value_kind:     by_value
      - .offset:         144
        .size:           4
        .value_kind:     by_value
      - .offset:         148
        .size:           4
        .value_kind:     by_value
      - .offset:         152
        .size:           4
        .value_kind:     by_value
      - .offset:         156
        .size:           4
        .value_kind:     by_value
      - .offset:         160
        .size:           4
        .value_kind:     by_value
      - .offset:         164
        .size:           4
        .value_kind:     by_value
      - .offset:         168
        .size:           4
        .value_kind:     by_value
      - .offset:         172
        .size:           4
        .value_kind:     by_value
      - .offset:         176
        .size:           4
        .value_kind:     by_value
      - .offset:         180
        .size:           4
        .value_kind:     by_value
      - .offset:         184
        .size:           4
        .value_kind:     by_value
      - .offset:         188
        .size:           4
        .value_kind:     by_value
      - .offset:         192
        .size:           4
        .value_kind:     by_value
      - .offset:         196
        .size:           4
        .value_kind:     by_value
      - .offset:         200
        .size:           4
        .value_kind:     hidden_block_count_x
      - .offset:         204
        .size:           4
        .value_kind:     hidden_block_count_y
      - .offset:         208
        .size:           4
        .value_kind:     hidden_block_count_z
      - .offset:         212
        .size:           2
        .value_kind:     hidden_group_size_x
      - .offset:         214
        .size:           2
        .value_kind:     hidden_group_size_y
      - .offset:         216
        .size:           2
        .value_kind:     hidden_group_size_z
      - .offset:         218
        .size:           2
        .value_kind:     hidden_remainder_x
      - .offset:         220
        .size:           2
        .value_kind:     hidden_remainder_y
      - .offset:         222
        .size:           2
        .value_kind:     hidden_remainder_z
      - .offset:         240
        .size:           8
        .value_kind:     hidden_global_offset_x
      - .offset:         248
        .size:           8
        .value_kind:     hidden_global_offset_y
      - .offset:         256
        .size:           8
        .value_kind:     hidden_global_offset_z
      - .offset:         264
        .size:           2
        .value_kind:     hidden_grid_dims
    .group_segment_fixed_size: 0
    .kernarg_segment_align: 8
    .kernarg_segment_size: 456
    .language:       OpenCL C
    .language_version:
      - 2
      - 0
    .max_flat_workgroup_size: 1024
    .name:           _ZN2at6native12_GLOBAL__N_139conv_depthwise2d_forward_kernel_genericIN3c108BFloat16EiEEvN5torch10headeronly6detail27GenericPackedTensorAccessorINS7_14TensorAccessorINS3_8ArrayRefIlEEKT_Lm3ENS6_16DefaultPtrTraitsEiEENS_6detail16IndexBoundsCheckILm4EiEESD_Lm4ESE_iEENS8_INS9_ISB_SC_Lm3ESE_iEESI_SC_Lm4ESE_iEESJ_NS8_INS9_ISB_SD_Lm0ESE_iEENSH_ILm1EiEESD_Lm1ESE_iEEbT0_iiiiiiiiiiiiii
    .private_segment_fixed_size: 0
    .sgpr_count:     65
    .sgpr_spill_count: 0
    .symbol:         _ZN2at6native12_GLOBAL__N_139conv_depthwise2d_forward_kernel_genericIN3c108BFloat16EiEEvN5torch10headeronly6detail27GenericPackedTensorAccessorINS7_14TensorAccessorINS3_8ArrayRefIlEEKT_Lm3ENS6_16DefaultPtrTraitsEiEENS_6detail16IndexBoundsCheckILm4EiEESD_Lm4ESE_iEENS8_INS9_ISB_SC_Lm3ESE_iEESI_SC_Lm4ESE_iEESJ_NS8_INS9_ISB_SD_Lm0ESE_iEENSH_ILm1EiEESD_Lm1ESE_iEEbT0_iiiiiiiiiiiiii.kd
    .uniform_work_group_size: 1
    .uses_dynamic_stack: false
    .vgpr_count:     24
    .vgpr_spill_count: 0
    .wavefront_size: 64
  - .args:
      - .offset:         0
        .size:           40
        .value_kind:     by_value
      - .offset:         40
        .size:           40
        .value_kind:     by_value
      - .offset:         80
        .size:           40
        .value_kind:     by_value
      - .offset:         120
        .size:           4
        .value_kind:     by_value
      - .offset:         124
        .size:           4
        .value_kind:     by_value
      - .offset:         128
        .size:           4
        .value_kind:     by_value
      - .offset:         132
        .size:           4
        .value_kind:     by_value
      - .offset:         136
        .size:           4
        .value_kind:     by_value
      - .offset:         140
        .size:           4
        .value_kind:     by_value
      - .offset:         144
        .size:           4
        .value_kind:     by_value
      - .offset:         148
        .size:           4
        .value_kind:     by_value
      - .offset:         152
        .size:           4
        .value_kind:     by_value
      - .offset:         156
        .size:           4
        .value_kind:     by_value
      - .offset:         160
        .size:           4
        .value_kind:     by_value
      - .offset:         164
        .size:           4
        .value_kind:     by_value
      - .offset:         168
        .size:           4
        .value_kind:     by_value
      - .offset:         172
        .size:           4
        .value_kind:     by_value
      - .offset:         176
        .size:           4
        .value_kind:     by_value
      - .offset:         180
        .size:           4
        .value_kind:     by_value
      - .offset:         184
        .size:           4
        .value_kind:     hidden_block_count_x
      - .offset:         188
        .size:           4
        .value_kind:     hidden_block_count_y
      - .offset:         192
        .size:           4
        .value_kind:     hidden_block_count_z
      - .offset:         196
        .size:           2
        .value_kind:     hidden_group_size_x
      - .offset:         198
        .size:           2
        .value_kind:     hidden_group_size_y
      - .offset:         200
        .size:           2
        .value_kind:     hidden_group_size_z
      - .offset:         202
        .size:           2
        .value_kind:     hidden_remainder_x
      - .offset:         204
        .size:           2
        .value_kind:     hidden_remainder_y
      - .offset:         206
        .size:           2
        .value_kind:     hidden_remainder_z
      - .offset:         224
        .size:           8
        .value_kind:     hidden_global_offset_x
      - .offset:         232
        .size:           8
        .value_kind:     hidden_global_offset_y
      - .offset:         240
        .size:           8
        .value_kind:     hidden_global_offset_z
      - .offset:         248
        .size:           2
        .value_kind:     hidden_grid_dims
    .group_segment_fixed_size: 0
    .kernarg_segment_align: 8
    .kernarg_segment_size: 440
    .language:       OpenCL C
    .language_version:
      - 2
      - 0
    .max_flat_workgroup_size: 1024
    .name:           _ZN2at6native12_GLOBAL__N_132conv_depthwise2d_backward_kernelILi5ELi1EdiEEvN5torch10headeronly6detail27GenericPackedTensorAccessorINS5_14TensorAccessorIN3c108ArrayRefIlEEKT1_Lm3ENS4_16DefaultPtrTraitsEiEENS_6detail16IndexBoundsCheckILm4EiEESC_Lm4ESD_iEENS6_INS7_ISA_SB_Lm3ESD_iEESH_SB_Lm4ESD_iEESI_T2_iiiiiiiiiiiiiii
    .private_segment_fixed_size: 0
    .sgpr_count:     100
    .sgpr_spill_count: 3
    .symbol:         _ZN2at6native12_GLOBAL__N_132conv_depthwise2d_backward_kernelILi5ELi1EdiEEvN5torch10headeronly6detail27GenericPackedTensorAccessorINS5_14TensorAccessorIN3c108ArrayRefIlEEKT1_Lm3ENS4_16DefaultPtrTraitsEiEENS_6detail16IndexBoundsCheckILm4EiEESC_Lm4ESD_iEENS6_INS7_ISA_SB_Lm3ESD_iEESH_SB_Lm4ESD_iEESI_T2_iiiiiiiiiiiiiii.kd
    .uniform_work_group_size: 1
    .uses_dynamic_stack: false
    .vgpr_count:     46
    .vgpr_spill_count: 0
    .wavefront_size: 64
  - .args:
      - .offset:         0
        .size:           40
        .value_kind:     by_value
      - .offset:         40
        .size:           40
        .value_kind:     by_value
      - .offset:         80
        .size:           40
        .value_kind:     by_value
      - .offset:         120
        .size:           4
        .value_kind:     by_value
      - .offset:         124
        .size:           4
        .value_kind:     by_value
      - .offset:         128
        .size:           4
        .value_kind:     by_value
      - .offset:         132
        .size:           4
        .value_kind:     by_value
      - .offset:         136
        .size:           4
        .value_kind:     by_value
      - .offset:         140
        .size:           4
        .value_kind:     by_value
      - .offset:         144
        .size:           4
        .value_kind:     by_value
      - .offset:         148
        .size:           4
        .value_kind:     by_value
      - .offset:         152
        .size:           4
        .value_kind:     by_value
      - .offset:         156
        .size:           4
        .value_kind:     by_value
      - .offset:         160
        .size:           4
        .value_kind:     by_value
      - .offset:         164
        .size:           4
        .value_kind:     by_value
      - .offset:         168
        .size:           4
        .value_kind:     by_value
      - .offset:         172
        .size:           4
        .value_kind:     by_value
      - .offset:         176
        .size:           4
        .value_kind:     by_value
      - .offset:         180
        .size:           4
        .value_kind:     by_value
      - .offset:         184
        .size:           4
        .value_kind:     hidden_block_count_x
      - .offset:         188
        .size:           4
        .value_kind:     hidden_block_count_y
      - .offset:         192
        .size:           4
        .value_kind:     hidden_block_count_z
      - .offset:         196
        .size:           2
        .value_kind:     hidden_group_size_x
      - .offset:         198
        .size:           2
        .value_kind:     hidden_group_size_y
      - .offset:         200
        .size:           2
        .value_kind:     hidden_group_size_z
      - .offset:         202
        .size:           2
        .value_kind:     hidden_remainder_x
      - .offset:         204
        .size:           2
        .value_kind:     hidden_remainder_y
      - .offset:         206
        .size:           2
        .value_kind:     hidden_remainder_z
      - .offset:         224
        .size:           8
        .value_kind:     hidden_global_offset_x
      - .offset:         232
        .size:           8
        .value_kind:     hidden_global_offset_y
      - .offset:         240
        .size:           8
        .value_kind:     hidden_global_offset_z
      - .offset:         248
        .size:           2
        .value_kind:     hidden_grid_dims
    .group_segment_fixed_size: 0
    .kernarg_segment_align: 8
    .kernarg_segment_size: 440
    .language:       OpenCL C
    .language_version:
      - 2
      - 0
    .max_flat_workgroup_size: 1024
    .name:           _ZN2at6native12_GLOBAL__N_132conv_depthwise2d_backward_kernelILi5ELi2EdiEEvN5torch10headeronly6detail27GenericPackedTensorAccessorINS5_14TensorAccessorIN3c108ArrayRefIlEEKT1_Lm3ENS4_16DefaultPtrTraitsEiEENS_6detail16IndexBoundsCheckILm4EiEESC_Lm4ESD_iEENS6_INS7_ISA_SB_Lm3ESD_iEESH_SB_Lm4ESD_iEESI_T2_iiiiiiiiiiiiiii
    .private_segment_fixed_size: 0
    .sgpr_count:     94
    .sgpr_spill_count: 0
    .symbol:         _ZN2at6native12_GLOBAL__N_132conv_depthwise2d_backward_kernelILi5ELi2EdiEEvN5torch10headeronly6detail27GenericPackedTensorAccessorINS5_14TensorAccessorIN3c108ArrayRefIlEEKT1_Lm3ENS4_16DefaultPtrTraitsEiEENS_6detail16IndexBoundsCheckILm4EiEESC_Lm4ESD_iEENS6_INS7_ISA_SB_Lm3ESD_iEESH_SB_Lm4ESD_iEESI_T2_iiiiiiiiiiiiiii.kd
    .uniform_work_group_size: 1
    .uses_dynamic_stack: false
    .vgpr_count:     39
    .vgpr_spill_count: 0
    .wavefront_size: 64
  - .args:
      - .offset:         0
        .size:           40
        .value_kind:     by_value
      - .offset:         40
        .size:           40
        .value_kind:     by_value
      - .offset:         80
        .size:           40
        .value_kind:     by_value
      - .offset:         120
        .size:           4
        .value_kind:     by_value
      - .offset:         124
        .size:           4
        .value_kind:     by_value
      - .offset:         128
        .size:           4
        .value_kind:     by_value
      - .offset:         132
        .size:           4
        .value_kind:     by_value
      - .offset:         136
        .size:           4
        .value_kind:     by_value
      - .offset:         140
        .size:           4
        .value_kind:     by_value
      - .offset:         144
        .size:           4
        .value_kind:     by_value
      - .offset:         148
        .size:           4
        .value_kind:     by_value
      - .offset:         152
        .size:           4
        .value_kind:     by_value
      - .offset:         156
        .size:           4
        .value_kind:     by_value
      - .offset:         160
        .size:           4
        .value_kind:     by_value
      - .offset:         164
        .size:           4
        .value_kind:     by_value
      - .offset:         168
        .size:           4
        .value_kind:     by_value
      - .offset:         172
        .size:           4
        .value_kind:     by_value
      - .offset:         176
        .size:           4
        .value_kind:     by_value
      - .offset:         180
        .size:           4
        .value_kind:     by_value
      - .offset:         184
        .size:           4
        .value_kind:     hidden_block_count_x
      - .offset:         188
        .size:           4
        .value_kind:     hidden_block_count_y
      - .offset:         192
        .size:           4
        .value_kind:     hidden_block_count_z
      - .offset:         196
        .size:           2
        .value_kind:     hidden_group_size_x
      - .offset:         198
        .size:           2
        .value_kind:     hidden_group_size_y
      - .offset:         200
        .size:           2
        .value_kind:     hidden_group_size_z
      - .offset:         202
        .size:           2
        .value_kind:     hidden_remainder_x
      - .offset:         204
        .size:           2
        .value_kind:     hidden_remainder_y
      - .offset:         206
        .size:           2
        .value_kind:     hidden_remainder_z
      - .offset:         224
        .size:           8
        .value_kind:     hidden_global_offset_x
      - .offset:         232
        .size:           8
        .value_kind:     hidden_global_offset_y
      - .offset:         240
        .size:           8
        .value_kind:     hidden_global_offset_z
      - .offset:         248
        .size:           2
        .value_kind:     hidden_grid_dims
    .group_segment_fixed_size: 0
    .kernarg_segment_align: 8
    .kernarg_segment_size: 440
    .language:       OpenCL C
    .language_version:
      - 2
      - 0
    .max_flat_workgroup_size: 1024
    .name:           _ZN2at6native12_GLOBAL__N_132conv_depthwise2d_backward_kernelILi5ELi0EdiEEvN5torch10headeronly6detail27GenericPackedTensorAccessorINS5_14TensorAccessorIN3c108ArrayRefIlEEKT1_Lm3ENS4_16DefaultPtrTraitsEiEENS_6detail16IndexBoundsCheckILm4EiEESC_Lm4ESD_iEENS6_INS7_ISA_SB_Lm3ESD_iEESH_SB_Lm4ESD_iEESI_T2_iiiiiiiiiiiiiii
    .private_segment_fixed_size: 0
    .sgpr_count:     100
    .sgpr_spill_count: 42
    .symbol:         _ZN2at6native12_GLOBAL__N_132conv_depthwise2d_backward_kernelILi5ELi0EdiEEvN5torch10headeronly6detail27GenericPackedTensorAccessorINS5_14TensorAccessorIN3c108ArrayRefIlEEKT1_Lm3ENS4_16DefaultPtrTraitsEiEENS_6detail16IndexBoundsCheckILm4EiEESC_Lm4ESD_iEENS6_INS7_ISA_SB_Lm3ESD_iEESH_SB_Lm4ESD_iEESI_T2_iiiiiiiiiiiiiii.kd
    .uniform_work_group_size: 1
    .uses_dynamic_stack: false
    .vgpr_count:     45
    .vgpr_spill_count: 0
    .wavefront_size: 64
  - .args:
      - .offset:         0
        .size:           40
        .value_kind:     by_value
      - .offset:         40
        .size:           40
        .value_kind:     by_value
      - .offset:         80
        .size:           40
        .value_kind:     by_value
      - .offset:         120
        .size:           4
        .value_kind:     by_value
      - .offset:         124
        .size:           4
        .value_kind:     by_value
      - .offset:         128
        .size:           4
        .value_kind:     by_value
      - .offset:         132
        .size:           4
        .value_kind:     by_value
      - .offset:         136
        .size:           4
        .value_kind:     by_value
      - .offset:         140
        .size:           4
        .value_kind:     by_value
      - .offset:         144
        .size:           4
        .value_kind:     by_value
      - .offset:         148
        .size:           4
        .value_kind:     by_value
      - .offset:         152
        .size:           4
        .value_kind:     by_value
      - .offset:         156
        .size:           4
        .value_kind:     by_value
      - .offset:         160
        .size:           4
        .value_kind:     by_value
      - .offset:         164
        .size:           4
        .value_kind:     by_value
      - .offset:         168
        .size:           4
        .value_kind:     by_value
      - .offset:         172
        .size:           4
        .value_kind:     by_value
      - .offset:         176
        .size:           4
        .value_kind:     by_value
      - .offset:         180
        .size:           4
        .value_kind:     by_value
      - .offset:         184
        .size:           4
        .value_kind:     hidden_block_count_x
      - .offset:         188
        .size:           4
        .value_kind:     hidden_block_count_y
      - .offset:         192
        .size:           4
        .value_kind:     hidden_block_count_z
      - .offset:         196
        .size:           2
        .value_kind:     hidden_group_size_x
      - .offset:         198
        .size:           2
        .value_kind:     hidden_group_size_y
      - .offset:         200
        .size:           2
        .value_kind:     hidden_group_size_z
      - .offset:         202
        .size:           2
        .value_kind:     hidden_remainder_x
      - .offset:         204
        .size:           2
        .value_kind:     hidden_remainder_y
      - .offset:         206
        .size:           2
        .value_kind:     hidden_remainder_z
      - .offset:         224
        .size:           8
        .value_kind:     hidden_global_offset_x
      - .offset:         232
        .size:           8
        .value_kind:     hidden_global_offset_y
      - .offset:         240
        .size:           8
        .value_kind:     hidden_global_offset_z
      - .offset:         248
        .size:           2
        .value_kind:     hidden_grid_dims
    .group_segment_fixed_size: 0
    .kernarg_segment_align: 8
    .kernarg_segment_size: 440
    .language:       OpenCL C
    .language_version:
      - 2
      - 0
    .max_flat_workgroup_size: 1024
    .name:           _ZN2at6native12_GLOBAL__N_132conv_depthwise2d_backward_kernelILi3ELi1EdiEEvN5torch10headeronly6detail27GenericPackedTensorAccessorINS5_14TensorAccessorIN3c108ArrayRefIlEEKT1_Lm3ENS4_16DefaultPtrTraitsEiEENS_6detail16IndexBoundsCheckILm4EiEESC_Lm4ESD_iEENS6_INS7_ISA_SB_Lm3ESD_iEESH_SB_Lm4ESD_iEESI_T2_iiiiiiiiiiiiiii
    .private_segment_fixed_size: 0
    .sgpr_count:     72
    .sgpr_spill_count: 0
    .symbol:         _ZN2at6native12_GLOBAL__N_132conv_depthwise2d_backward_kernelILi3ELi1EdiEEvN5torch10headeronly6detail27GenericPackedTensorAccessorINS5_14TensorAccessorIN3c108ArrayRefIlEEKT1_Lm3ENS4_16DefaultPtrTraitsEiEENS_6detail16IndexBoundsCheckILm4EiEESC_Lm4ESD_iEENS6_INS7_ISA_SB_Lm3ESD_iEESH_SB_Lm4ESD_iEESI_T2_iiiiiiiiiiiiiii.kd
    .uniform_work_group_size: 1
    .uses_dynamic_stack: false
    .vgpr_count:     27
    .vgpr_spill_count: 0
    .wavefront_size: 64
  - .args:
      - .offset:         0
        .size:           40
        .value_kind:     by_value
      - .offset:         40
        .size:           40
        .value_kind:     by_value
      - .offset:         80
        .size:           40
        .value_kind:     by_value
      - .offset:         120
        .size:           4
        .value_kind:     by_value
      - .offset:         124
        .size:           4
        .value_kind:     by_value
      - .offset:         128
        .size:           4
        .value_kind:     by_value
      - .offset:         132
        .size:           4
        .value_kind:     by_value
      - .offset:         136
        .size:           4
        .value_kind:     by_value
      - .offset:         140
        .size:           4
        .value_kind:     by_value
      - .offset:         144
        .size:           4
        .value_kind:     by_value
      - .offset:         148
        .size:           4
        .value_kind:     by_value
      - .offset:         152
        .size:           4
        .value_kind:     by_value
      - .offset:         156
        .size:           4
        .value_kind:     by_value
      - .offset:         160
        .size:           4
        .value_kind:     by_value
      - .offset:         164
        .size:           4
        .value_kind:     by_value
      - .offset:         168
        .size:           4
        .value_kind:     by_value
      - .offset:         172
        .size:           4
        .value_kind:     by_value
      - .offset:         176
        .size:           4
        .value_kind:     by_value
      - .offset:         180
        .size:           4
        .value_kind:     by_value
      - .offset:         184
        .size:           4
        .value_kind:     hidden_block_count_x
      - .offset:         188
        .size:           4
        .value_kind:     hidden_block_count_y
      - .offset:         192
        .size:           4
        .value_kind:     hidden_block_count_z
      - .offset:         196
        .size:           2
        .value_kind:     hidden_group_size_x
      - .offset:         198
        .size:           2
        .value_kind:     hidden_group_size_y
      - .offset:         200
        .size:           2
        .value_kind:     hidden_group_size_z
      - .offset:         202
        .size:           2
        .value_kind:     hidden_remainder_x
      - .offset:         204
        .size:           2
        .value_kind:     hidden_remainder_y
      - .offset:         206
        .size:           2
        .value_kind:     hidden_remainder_z
      - .offset:         224
        .size:           8
        .value_kind:     hidden_global_offset_x
      - .offset:         232
        .size:           8
        .value_kind:     hidden_global_offset_y
      - .offset:         240
        .size:           8
        .value_kind:     hidden_global_offset_z
      - .offset:         248
        .size:           2
        .value_kind:     hidden_grid_dims
    .group_segment_fixed_size: 0
    .kernarg_segment_align: 8
    .kernarg_segment_size: 440
    .language:       OpenCL C
    .language_version:
      - 2
      - 0
    .max_flat_workgroup_size: 1024
    .name:           _ZN2at6native12_GLOBAL__N_132conv_depthwise2d_backward_kernelILi3ELi2EdiEEvN5torch10headeronly6detail27GenericPackedTensorAccessorINS5_14TensorAccessorIN3c108ArrayRefIlEEKT1_Lm3ENS4_16DefaultPtrTraitsEiEENS_6detail16IndexBoundsCheckILm4EiEESC_Lm4ESD_iEENS6_INS7_ISA_SB_Lm3ESD_iEESH_SB_Lm4ESD_iEESI_T2_iiiiiiiiiiiiiii
    .private_segment_fixed_size: 0
    .sgpr_count:     80
    .sgpr_spill_count: 0
    .symbol:         _ZN2at6native12_GLOBAL__N_132conv_depthwise2d_backward_kernelILi3ELi2EdiEEvN5torch10headeronly6detail27GenericPackedTensorAccessorINS5_14TensorAccessorIN3c108ArrayRefIlEEKT1_Lm3ENS4_16DefaultPtrTraitsEiEENS_6detail16IndexBoundsCheckILm4EiEESC_Lm4ESD_iEENS6_INS7_ISA_SB_Lm3ESD_iEESH_SB_Lm4ESD_iEESI_T2_iiiiiiiiiiiiiii.kd
    .uniform_work_group_size: 1
    .uses_dynamic_stack: false
    .vgpr_count:     23
    .vgpr_spill_count: 0
    .wavefront_size: 64
  - .args:
      - .offset:         0
        .size:           40
        .value_kind:     by_value
      - .offset:         40
        .size:           40
        .value_kind:     by_value
      - .offset:         80
        .size:           40
        .value_kind:     by_value
      - .offset:         120
        .size:           4
        .value_kind:     by_value
      - .offset:         124
        .size:           4
        .value_kind:     by_value
      - .offset:         128
        .size:           4
        .value_kind:     by_value
      - .offset:         132
        .size:           4
        .value_kind:     by_value
      - .offset:         136
        .size:           4
        .value_kind:     by_value
      - .offset:         140
        .size:           4
        .value_kind:     by_value
      - .offset:         144
        .size:           4
        .value_kind:     by_value
      - .offset:         148
        .size:           4
        .value_kind:     by_value
      - .offset:         152
        .size:           4
        .value_kind:     by_value
      - .offset:         156
        .size:           4
        .value_kind:     by_value
      - .offset:         160
        .size:           4
        .value_kind:     by_value
      - .offset:         164
        .size:           4
        .value_kind:     by_value
      - .offset:         168
        .size:           4
        .value_kind:     by_value
      - .offset:         172
        .size:           4
        .value_kind:     by_value
      - .offset:         176
        .size:           4
        .value_kind:     by_value
      - .offset:         180
        .size:           4
        .value_kind:     by_value
      - .offset:         184
        .size:           4
        .value_kind:     hidden_block_count_x
      - .offset:         188
        .size:           4
        .value_kind:     hidden_block_count_y
      - .offset:         192
        .size:           4
        .value_kind:     hidden_block_count_z
      - .offset:         196
        .size:           2
        .value_kind:     hidden_group_size_x
      - .offset:         198
        .size:           2
        .value_kind:     hidden_group_size_y
      - .offset:         200
        .size:           2
        .value_kind:     hidden_group_size_z
      - .offset:         202
        .size:           2
        .value_kind:     hidden_remainder_x
      - .offset:         204
        .size:           2
        .value_kind:     hidden_remainder_y
      - .offset:         206
        .size:           2
        .value_kind:     hidden_remainder_z
      - .offset:         224
        .size:           8
        .value_kind:     hidden_global_offset_x
      - .offset:         232
        .size:           8
        .value_kind:     hidden_global_offset_y
      - .offset:         240
        .size:           8
        .value_kind:     hidden_global_offset_z
      - .offset:         248
        .size:           2
        .value_kind:     hidden_grid_dims
    .group_segment_fixed_size: 0
    .kernarg_segment_align: 8
    .kernarg_segment_size: 440
    .language:       OpenCL C
    .language_version:
      - 2
      - 0
    .max_flat_workgroup_size: 1024
    .name:           _ZN2at6native12_GLOBAL__N_132conv_depthwise2d_backward_kernelILi3ELi0EdiEEvN5torch10headeronly6detail27GenericPackedTensorAccessorINS5_14TensorAccessorIN3c108ArrayRefIlEEKT1_Lm3ENS4_16DefaultPtrTraitsEiEENS_6detail16IndexBoundsCheckILm4EiEESC_Lm4ESD_iEENS6_INS7_ISA_SB_Lm3ESD_iEESH_SB_Lm4ESD_iEESI_T2_iiiiiiiiiiiiiii
    .private_segment_fixed_size: 0
    .sgpr_count:     96
    .sgpr_spill_count: 0
    .symbol:         _ZN2at6native12_GLOBAL__N_132conv_depthwise2d_backward_kernelILi3ELi0EdiEEvN5torch10headeronly6detail27GenericPackedTensorAccessorINS5_14TensorAccessorIN3c108ArrayRefIlEEKT1_Lm3ENS4_16DefaultPtrTraitsEiEENS_6detail16IndexBoundsCheckILm4EiEESC_Lm4ESD_iEENS6_INS7_ISA_SB_Lm3ESD_iEESH_SB_Lm4ESD_iEESI_T2_iiiiiiiiiiiiiii.kd
    .uniform_work_group_size: 1
    .uses_dynamic_stack: false
    .vgpr_count:     29
    .vgpr_spill_count: 0
    .wavefront_size: 64
  - .args:
      - .offset:         0
        .size:           40
        .value_kind:     by_value
      - .offset:         40
        .size:           40
        .value_kind:     by_value
      - .offset:         80
        .size:           40
        .value_kind:     by_value
      - .offset:         120
        .size:           4
        .value_kind:     by_value
      - .offset:         124
        .size:           4
        .value_kind:     by_value
      - .offset:         128
        .size:           4
        .value_kind:     by_value
      - .offset:         132
        .size:           4
        .value_kind:     by_value
      - .offset:         136
        .size:           4
        .value_kind:     by_value
      - .offset:         140
        .size:           4
        .value_kind:     by_value
      - .offset:         144
        .size:           4
        .value_kind:     by_value
      - .offset:         148
        .size:           4
        .value_kind:     by_value
      - .offset:         152
        .size:           4
        .value_kind:     by_value
      - .offset:         156
        .size:           4
        .value_kind:     by_value
      - .offset:         160
        .size:           4
        .value_kind:     by_value
      - .offset:         164
        .size:           4
        .value_kind:     by_value
      - .offset:         168
        .size:           4
        .value_kind:     by_value
      - .offset:         172
        .size:           4
        .value_kind:     by_value
      - .offset:         176
        .size:           4
        .value_kind:     by_value
      - .offset:         180
        .size:           4
        .value_kind:     by_value
      - .offset:         184
        .size:           4
        .value_kind:     hidden_block_count_x
      - .offset:         188
        .size:           4
        .value_kind:     hidden_block_count_y
      - .offset:         192
        .size:           4
        .value_kind:     hidden_block_count_z
      - .offset:         196
        .size:           2
        .value_kind:     hidden_group_size_x
      - .offset:         198
        .size:           2
        .value_kind:     hidden_group_size_y
      - .offset:         200
        .size:           2
        .value_kind:     hidden_group_size_z
      - .offset:         202
        .size:           2
        .value_kind:     hidden_remainder_x
      - .offset:         204
        .size:           2
        .value_kind:     hidden_remainder_y
      - .offset:         206
        .size:           2
        .value_kind:     hidden_remainder_z
      - .offset:         224
        .size:           8
        .value_kind:     hidden_global_offset_x
      - .offset:         232
        .size:           8
        .value_kind:     hidden_global_offset_y
      - .offset:         240
        .size:           8
        .value_kind:     hidden_global_offset_z
      - .offset:         248
        .size:           2
        .value_kind:     hidden_grid_dims
    .group_segment_fixed_size: 0
    .kernarg_segment_align: 8
    .kernarg_segment_size: 440
    .language:       OpenCL C
    .language_version:
      - 2
      - 0
    .max_flat_workgroup_size: 1024
    .name:           _ZN2at6native12_GLOBAL__N_132conv_depthwise2d_backward_kernelILi1ELi1EdiEEvN5torch10headeronly6detail27GenericPackedTensorAccessorINS5_14TensorAccessorIN3c108ArrayRefIlEEKT1_Lm3ENS4_16DefaultPtrTraitsEiEENS_6detail16IndexBoundsCheckILm4EiEESC_Lm4ESD_iEENS6_INS7_ISA_SB_Lm3ESD_iEESH_SB_Lm4ESD_iEESI_T2_iiiiiiiiiiiiiii
    .private_segment_fixed_size: 0
    .sgpr_count:     44
    .sgpr_spill_count: 0
    .symbol:         _ZN2at6native12_GLOBAL__N_132conv_depthwise2d_backward_kernelILi1ELi1EdiEEvN5torch10headeronly6detail27GenericPackedTensorAccessorINS5_14TensorAccessorIN3c108ArrayRefIlEEKT1_Lm3ENS4_16DefaultPtrTraitsEiEENS_6detail16IndexBoundsCheckILm4EiEESC_Lm4ESD_iEENS6_INS7_ISA_SB_Lm3ESD_iEESH_SB_Lm4ESD_iEESI_T2_iiiiiiiiiiiiiii.kd
    .uniform_work_group_size: 1
    .uses_dynamic_stack: false
    .vgpr_count:     20
    .vgpr_spill_count: 0
    .wavefront_size: 64
  - .args:
      - .offset:         0
        .size:           40
        .value_kind:     by_value
      - .offset:         40
        .size:           40
        .value_kind:     by_value
      - .offset:         80
        .size:           40
        .value_kind:     by_value
      - .offset:         120
        .size:           4
        .value_kind:     by_value
      - .offset:         124
        .size:           4
        .value_kind:     by_value
      - .offset:         128
        .size:           4
        .value_kind:     by_value
      - .offset:         132
        .size:           4
        .value_kind:     by_value
      - .offset:         136
        .size:           4
        .value_kind:     by_value
      - .offset:         140
        .size:           4
        .value_kind:     by_value
      - .offset:         144
        .size:           4
        .value_kind:     by_value
      - .offset:         148
        .size:           4
        .value_kind:     by_value
      - .offset:         152
        .size:           4
        .value_kind:     by_value
      - .offset:         156
        .size:           4
        .value_kind:     by_value
      - .offset:         160
        .size:           4
        .value_kind:     by_value
      - .offset:         164
        .size:           4
        .value_kind:     by_value
      - .offset:         168
        .size:           4
        .value_kind:     by_value
      - .offset:         172
        .size:           4
        .value_kind:     by_value
      - .offset:         176
        .size:           4
        .value_kind:     by_value
      - .offset:         180
        .size:           4
        .value_kind:     by_value
      - .offset:         184
        .size:           4
        .value_kind:     hidden_block_count_x
      - .offset:         188
        .size:           4
        .value_kind:     hidden_block_count_y
      - .offset:         192
        .size:           4
        .value_kind:     hidden_block_count_z
      - .offset:         196
        .size:           2
        .value_kind:     hidden_group_size_x
      - .offset:         198
        .size:           2
        .value_kind:     hidden_group_size_y
      - .offset:         200
        .size:           2
        .value_kind:     hidden_group_size_z
      - .offset:         202
        .size:           2
        .value_kind:     hidden_remainder_x
      - .offset:         204
        .size:           2
        .value_kind:     hidden_remainder_y
      - .offset:         206
        .size:           2
        .value_kind:     hidden_remainder_z
      - .offset:         224
        .size:           8
        .value_kind:     hidden_global_offset_x
      - .offset:         232
        .size:           8
        .value_kind:     hidden_global_offset_y
      - .offset:         240
        .size:           8
        .value_kind:     hidden_global_offset_z
      - .offset:         248
        .size:           2
        .value_kind:     hidden_grid_dims
    .group_segment_fixed_size: 0
    .kernarg_segment_align: 8
    .kernarg_segment_size: 440
    .language:       OpenCL C
    .language_version:
      - 2
      - 0
    .max_flat_workgroup_size: 1024
    .name:           _ZN2at6native12_GLOBAL__N_132conv_depthwise2d_backward_kernelILi1ELi2EdiEEvN5torch10headeronly6detail27GenericPackedTensorAccessorINS5_14TensorAccessorIN3c108ArrayRefIlEEKT1_Lm3ENS4_16DefaultPtrTraitsEiEENS_6detail16IndexBoundsCheckILm4EiEESC_Lm4ESD_iEENS6_INS7_ISA_SB_Lm3ESD_iEESH_SB_Lm4ESD_iEESI_T2_iiiiiiiiiiiiiii
    .private_segment_fixed_size: 0
    .sgpr_count:     46
    .sgpr_spill_count: 0
    .symbol:         _ZN2at6native12_GLOBAL__N_132conv_depthwise2d_backward_kernelILi1ELi2EdiEEvN5torch10headeronly6detail27GenericPackedTensorAccessorINS5_14TensorAccessorIN3c108ArrayRefIlEEKT1_Lm3ENS4_16DefaultPtrTraitsEiEENS_6detail16IndexBoundsCheckILm4EiEESC_Lm4ESD_iEENS6_INS7_ISA_SB_Lm3ESD_iEESH_SB_Lm4ESD_iEESI_T2_iiiiiiiiiiiiiii.kd
    .uniform_work_group_size: 1
    .uses_dynamic_stack: false
    .vgpr_count:     19
    .vgpr_spill_count: 0
    .wavefront_size: 64
  - .args:
      - .offset:         0
        .size:           40
        .value_kind:     by_value
      - .offset:         40
        .size:           40
        .value_kind:     by_value
      - .offset:         80
        .size:           40
        .value_kind:     by_value
      - .offset:         120
        .size:           4
        .value_kind:     by_value
      - .offset:         124
        .size:           4
        .value_kind:     by_value
      - .offset:         128
        .size:           4
        .value_kind:     by_value
      - .offset:         132
        .size:           4
        .value_kind:     by_value
      - .offset:         136
        .size:           4
        .value_kind:     by_value
      - .offset:         140
        .size:           4
        .value_kind:     by_value
      - .offset:         144
        .size:           4
        .value_kind:     by_value
      - .offset:         148
        .size:           4
        .value_kind:     by_value
      - .offset:         152
        .size:           4
        .value_kind:     by_value
      - .offset:         156
        .size:           4
        .value_kind:     by_value
      - .offset:         160
        .size:           4
        .value_kind:     by_value
      - .offset:         164
        .size:           4
        .value_kind:     by_value
      - .offset:         168
        .size:           4
        .value_kind:     by_value
      - .offset:         172
        .size:           4
        .value_kind:     by_value
      - .offset:         176
        .size:           4
        .value_kind:     by_value
      - .offset:         180
        .size:           4
        .value_kind:     by_value
      - .offset:         184
        .size:           4
        .value_kind:     hidden_block_count_x
      - .offset:         188
        .size:           4
        .value_kind:     hidden_block_count_y
      - .offset:         192
        .size:           4
        .value_kind:     hidden_block_count_z
      - .offset:         196
        .size:           2
        .value_kind:     hidden_group_size_x
      - .offset:         198
        .size:           2
        .value_kind:     hidden_group_size_y
      - .offset:         200
        .size:           2
        .value_kind:     hidden_group_size_z
      - .offset:         202
        .size:           2
        .value_kind:     hidden_remainder_x
      - .offset:         204
        .size:           2
        .value_kind:     hidden_remainder_y
      - .offset:         206
        .size:           2
        .value_kind:     hidden_remainder_z
      - .offset:         224
        .size:           8
        .value_kind:     hidden_global_offset_x
      - .offset:         232
        .size:           8
        .value_kind:     hidden_global_offset_y
      - .offset:         240
        .size:           8
        .value_kind:     hidden_global_offset_z
      - .offset:         248
        .size:           2
        .value_kind:     hidden_grid_dims
    .group_segment_fixed_size: 0
    .kernarg_segment_align: 8
    .kernarg_segment_size: 440
    .language:       OpenCL C
    .language_version:
      - 2
      - 0
    .max_flat_workgroup_size: 1024
    .name:           _ZN2at6native12_GLOBAL__N_132conv_depthwise2d_backward_kernelILi1ELi0EdiEEvN5torch10headeronly6detail27GenericPackedTensorAccessorINS5_14TensorAccessorIN3c108ArrayRefIlEEKT1_Lm3ENS4_16DefaultPtrTraitsEiEENS_6detail16IndexBoundsCheckILm4EiEESC_Lm4ESD_iEENS6_INS7_ISA_SB_Lm3ESD_iEESH_SB_Lm4ESD_iEESI_T2_iiiiiiiiiiiiiii
    .private_segment_fixed_size: 0
    .sgpr_count:     55
    .sgpr_spill_count: 0
    .symbol:         _ZN2at6native12_GLOBAL__N_132conv_depthwise2d_backward_kernelILi1ELi0EdiEEvN5torch10headeronly6detail27GenericPackedTensorAccessorINS5_14TensorAccessorIN3c108ArrayRefIlEEKT1_Lm3ENS4_16DefaultPtrTraitsEiEENS_6detail16IndexBoundsCheckILm4EiEESC_Lm4ESD_iEENS6_INS7_ISA_SB_Lm3ESD_iEESH_SB_Lm4ESD_iEESI_T2_iiiiiiiiiiiiiii.kd
    .uniform_work_group_size: 1
    .uses_dynamic_stack: false
    .vgpr_count:     18
    .vgpr_spill_count: 0
    .wavefront_size: 64
  - .args:
      - .offset:         0
        .size:           40
        .value_kind:     by_value
      - .offset:         40
        .size:           40
        .value_kind:     by_value
      - .offset:         80
        .size:           40
        .value_kind:     by_value
      - .offset:         120
        .size:           4
        .value_kind:     by_value
      - .offset:         124
        .size:           4
        .value_kind:     by_value
      - .offset:         128
        .size:           4
        .value_kind:     by_value
      - .offset:         132
        .size:           4
        .value_kind:     by_value
      - .offset:         136
        .size:           4
        .value_kind:     by_value
      - .offset:         140
        .size:           4
        .value_kind:     by_value
      - .offset:         144
        .size:           4
        .value_kind:     by_value
      - .offset:         148
        .size:           4
        .value_kind:     by_value
      - .offset:         152
        .size:           4
        .value_kind:     by_value
      - .offset:         156
        .size:           4
        .value_kind:     by_value
      - .offset:         160
        .size:           4
        .value_kind:     by_value
      - .offset:         164
        .size:           4
        .value_kind:     by_value
      - .offset:         168
        .size:           4
        .value_kind:     by_value
      - .offset:         172
        .size:           4
        .value_kind:     by_value
      - .offset:         176
        .size:           4
        .value_kind:     by_value
      - .offset:         180
        .size:           4
        .value_kind:     by_value
      - .offset:         184
        .size:           4
        .value_kind:     hidden_block_count_x
      - .offset:         188
        .size:           4
        .value_kind:     hidden_block_count_y
      - .offset:         192
        .size:           4
        .value_kind:     hidden_block_count_z
      - .offset:         196
        .size:           2
        .value_kind:     hidden_group_size_x
      - .offset:         198
        .size:           2
        .value_kind:     hidden_group_size_y
      - .offset:         200
        .size:           2
        .value_kind:     hidden_group_size_z
      - .offset:         202
        .size:           2
        .value_kind:     hidden_remainder_x
      - .offset:         204
        .size:           2
        .value_kind:     hidden_remainder_y
      - .offset:         206
        .size:           2
        .value_kind:     hidden_remainder_z
      - .offset:         224
        .size:           8
        .value_kind:     hidden_global_offset_x
      - .offset:         232
        .size:           8
        .value_kind:     hidden_global_offset_y
      - .offset:         240
        .size:           8
        .value_kind:     hidden_global_offset_z
      - .offset:         248
        .size:           2
        .value_kind:     hidden_grid_dims
    .group_segment_fixed_size: 0
    .kernarg_segment_align: 8
    .kernarg_segment_size: 440
    .language:       OpenCL C
    .language_version:
      - 2
      - 0
    .max_flat_workgroup_size: 1024
    .name:           _ZN2at6native12_GLOBAL__N_132conv_depthwise2d_backward_kernelILi0ELi1EdiEEvN5torch10headeronly6detail27GenericPackedTensorAccessorINS5_14TensorAccessorIN3c108ArrayRefIlEEKT1_Lm3ENS4_16DefaultPtrTraitsEiEENS_6detail16IndexBoundsCheckILm4EiEESC_Lm4ESD_iEENS6_INS7_ISA_SB_Lm3ESD_iEESH_SB_Lm4ESD_iEESI_T2_iiiiiiiiiiiiiii
    .private_segment_fixed_size: 0
    .sgpr_count:     56
    .sgpr_spill_count: 0
    .symbol:         _ZN2at6native12_GLOBAL__N_132conv_depthwise2d_backward_kernelILi0ELi1EdiEEvN5torch10headeronly6detail27GenericPackedTensorAccessorINS5_14TensorAccessorIN3c108ArrayRefIlEEKT1_Lm3ENS4_16DefaultPtrTraitsEiEENS_6detail16IndexBoundsCheckILm4EiEESC_Lm4ESD_iEENS6_INS7_ISA_SB_Lm3ESD_iEESH_SB_Lm4ESD_iEESI_T2_iiiiiiiiiiiiiii.kd
    .uniform_work_group_size: 1
    .uses_dynamic_stack: false
    .vgpr_count:     23
    .vgpr_spill_count: 0
    .wavefront_size: 64
  - .args:
      - .offset:         0
        .size:           40
        .value_kind:     by_value
      - .offset:         40
        .size:           40
        .value_kind:     by_value
      - .offset:         80
        .size:           40
        .value_kind:     by_value
      - .offset:         120
        .size:           4
        .value_kind:     by_value
      - .offset:         124
        .size:           4
        .value_kind:     by_value
      - .offset:         128
        .size:           4
        .value_kind:     by_value
      - .offset:         132
        .size:           4
        .value_kind:     by_value
      - .offset:         136
        .size:           4
        .value_kind:     by_value
      - .offset:         140
        .size:           4
        .value_kind:     by_value
      - .offset:         144
        .size:           4
        .value_kind:     by_value
      - .offset:         148
        .size:           4
        .value_kind:     by_value
      - .offset:         152
        .size:           4
        .value_kind:     by_value
      - .offset:         156
        .size:           4
        .value_kind:     by_value
      - .offset:         160
        .size:           4
        .value_kind:     by_value
      - .offset:         164
        .size:           4
        .value_kind:     by_value
      - .offset:         168
        .size:           4
        .value_kind:     by_value
      - .offset:         172
        .size:           4
        .value_kind:     by_value
      - .offset:         176
        .size:           4
        .value_kind:     by_value
      - .offset:         180
        .size:           4
        .value_kind:     by_value
      - .offset:         184
        .size:           4
        .value_kind:     hidden_block_count_x
      - .offset:         188
        .size:           4
        .value_kind:     hidden_block_count_y
      - .offset:         192
        .size:           4
        .value_kind:     hidden_block_count_z
      - .offset:         196
        .size:           2
        .value_kind:     hidden_group_size_x
      - .offset:         198
        .size:           2
        .value_kind:     hidden_group_size_y
      - .offset:         200
        .size:           2
        .value_kind:     hidden_group_size_z
      - .offset:         202
        .size:           2
        .value_kind:     hidden_remainder_x
      - .offset:         204
        .size:           2
        .value_kind:     hidden_remainder_y
      - .offset:         206
        .size:           2
        .value_kind:     hidden_remainder_z
      - .offset:         224
        .size:           8
        .value_kind:     hidden_global_offset_x
      - .offset:         232
        .size:           8
        .value_kind:     hidden_global_offset_y
      - .offset:         240
        .size:           8
        .value_kind:     hidden_global_offset_z
      - .offset:         248
        .size:           2
        .value_kind:     hidden_grid_dims
    .group_segment_fixed_size: 0
    .kernarg_segment_align: 8
    .kernarg_segment_size: 440
    .language:       OpenCL C
    .language_version:
      - 2
      - 0
    .max_flat_workgroup_size: 1024
    .name:           _ZN2at6native12_GLOBAL__N_132conv_depthwise2d_backward_kernelILi0ELi2EdiEEvN5torch10headeronly6detail27GenericPackedTensorAccessorINS5_14TensorAccessorIN3c108ArrayRefIlEEKT1_Lm3ENS4_16DefaultPtrTraitsEiEENS_6detail16IndexBoundsCheckILm4EiEESC_Lm4ESD_iEENS6_INS7_ISA_SB_Lm3ESD_iEESH_SB_Lm4ESD_iEESI_T2_iiiiiiiiiiiiiii
    .private_segment_fixed_size: 0
    .sgpr_count:     58
    .sgpr_spill_count: 0
    .symbol:         _ZN2at6native12_GLOBAL__N_132conv_depthwise2d_backward_kernelILi0ELi2EdiEEvN5torch10headeronly6detail27GenericPackedTensorAccessorINS5_14TensorAccessorIN3c108ArrayRefIlEEKT1_Lm3ENS4_16DefaultPtrTraitsEiEENS_6detail16IndexBoundsCheckILm4EiEESC_Lm4ESD_iEENS6_INS7_ISA_SB_Lm3ESD_iEESH_SB_Lm4ESD_iEESI_T2_iiiiiiiiiiiiiii.kd
    .uniform_work_group_size: 1
    .uses_dynamic_stack: false
    .vgpr_count:     25
    .vgpr_spill_count: 0
    .wavefront_size: 64
  - .args:
      - .offset:         0
        .size:           40
        .value_kind:     by_value
      - .offset:         40
        .size:           40
        .value_kind:     by_value
      - .offset:         80
        .size:           40
        .value_kind:     by_value
      - .offset:         120
        .size:           4
        .value_kind:     by_value
      - .offset:         124
        .size:           4
        .value_kind:     by_value
      - .offset:         128
        .size:           4
        .value_kind:     by_value
      - .offset:         132
        .size:           4
        .value_kind:     by_value
      - .offset:         136
        .size:           4
        .value_kind:     by_value
      - .offset:         140
        .size:           4
        .value_kind:     by_value
      - .offset:         144
        .size:           4
        .value_kind:     by_value
      - .offset:         148
        .size:           4
        .value_kind:     by_value
      - .offset:         152
        .size:           4
        .value_kind:     by_value
      - .offset:         156
        .size:           4
        .value_kind:     by_value
      - .offset:         160
        .size:           4
        .value_kind:     by_value
      - .offset:         164
        .size:           4
        .value_kind:     by_value
      - .offset:         168
        .size:           4
        .value_kind:     by_value
      - .offset:         172
        .size:           4
        .value_kind:     by_value
      - .offset:         176
        .size:           4
        .value_kind:     by_value
      - .offset:         180
        .size:           4
        .value_kind:     by_value
      - .offset:         184
        .size:           4
        .value_kind:     hidden_block_count_x
      - .offset:         188
        .size:           4
        .value_kind:     hidden_block_count_y
      - .offset:         192
        .size:           4
        .value_kind:     hidden_block_count_z
      - .offset:         196
        .size:           2
        .value_kind:     hidden_group_size_x
      - .offset:         198
        .size:           2
        .value_kind:     hidden_group_size_y
      - .offset:         200
        .size:           2
        .value_kind:     hidden_group_size_z
      - .offset:         202
        .size:           2
        .value_kind:     hidden_remainder_x
      - .offset:         204
        .size:           2
        .value_kind:     hidden_remainder_y
      - .offset:         206
        .size:           2
        .value_kind:     hidden_remainder_z
      - .offset:         224
        .size:           8
        .value_kind:     hidden_global_offset_x
      - .offset:         232
        .size:           8
        .value_kind:     hidden_global_offset_y
      - .offset:         240
        .size:           8
        .value_kind:     hidden_global_offset_z
      - .offset:         248
        .size:           2
        .value_kind:     hidden_grid_dims
    .group_segment_fixed_size: 0
    .kernarg_segment_align: 8
    .kernarg_segment_size: 440
    .language:       OpenCL C
    .language_version:
      - 2
      - 0
    .max_flat_workgroup_size: 1024
    .name:           _ZN2at6native12_GLOBAL__N_132conv_depthwise2d_backward_kernelILi0ELi0EdiEEvN5torch10headeronly6detail27GenericPackedTensorAccessorINS5_14TensorAccessorIN3c108ArrayRefIlEEKT1_Lm3ENS4_16DefaultPtrTraitsEiEENS_6detail16IndexBoundsCheckILm4EiEESC_Lm4ESD_iEENS6_INS7_ISA_SB_Lm3ESD_iEESH_SB_Lm4ESD_iEESI_T2_iiiiiiiiiiiiiii
    .private_segment_fixed_size: 0
    .sgpr_count:     64
    .sgpr_spill_count: 0
    .symbol:         _ZN2at6native12_GLOBAL__N_132conv_depthwise2d_backward_kernelILi0ELi0EdiEEvN5torch10headeronly6detail27GenericPackedTensorAccessorINS5_14TensorAccessorIN3c108ArrayRefIlEEKT1_Lm3ENS4_16DefaultPtrTraitsEiEENS_6detail16IndexBoundsCheckILm4EiEESC_Lm4ESD_iEENS6_INS7_ISA_SB_Lm3ESD_iEESH_SB_Lm4ESD_iEESI_T2_iiiiiiiiiiiiiii.kd
    .uniform_work_group_size: 1
    .uses_dynamic_stack: false
    .vgpr_count:     27
    .vgpr_spill_count: 0
    .wavefront_size: 64
  - .args:
      - .offset:         0
        .size:           40
        .value_kind:     by_value
      - .offset:         40
        .size:           40
        .value_kind:     by_value
      - .offset:         80
        .size:           40
        .value_kind:     by_value
      - .offset:         120
        .size:           4
        .value_kind:     by_value
      - .offset:         124
        .size:           4
        .value_kind:     by_value
      - .offset:         128
        .size:           4
        .value_kind:     by_value
      - .offset:         132
        .size:           4
        .value_kind:     by_value
      - .offset:         136
        .size:           4
        .value_kind:     by_value
      - .offset:         140
        .size:           4
        .value_kind:     by_value
      - .offset:         144
        .size:           4
        .value_kind:     by_value
      - .offset:         148
        .size:           4
        .value_kind:     by_value
      - .offset:         152
        .size:           4
        .value_kind:     by_value
      - .offset:         156
        .size:           4
        .value_kind:     by_value
      - .offset:         160
        .size:           4
        .value_kind:     by_value
      - .offset:         164
        .size:           4
        .value_kind:     by_value
      - .offset:         168
        .size:           4
        .value_kind:     by_value
      - .offset:         172
        .size:           4
        .value_kind:     by_value
      - .offset:         176
        .size:           4
        .value_kind:     by_value
      - .offset:         180
        .size:           4
        .value_kind:     by_value
      - .offset:         184
        .size:           4
        .value_kind:     hidden_block_count_x
      - .offset:         188
        .size:           4
        .value_kind:     hidden_block_count_y
      - .offset:         192
        .size:           4
        .value_kind:     hidden_block_count_z
      - .offset:         196
        .size:           2
        .value_kind:     hidden_group_size_x
      - .offset:         198
        .size:           2
        .value_kind:     hidden_group_size_y
      - .offset:         200
        .size:           2
        .value_kind:     hidden_group_size_z
      - .offset:         202
        .size:           2
        .value_kind:     hidden_remainder_x
      - .offset:         204
        .size:           2
        .value_kind:     hidden_remainder_y
      - .offset:         206
        .size:           2
        .value_kind:     hidden_remainder_z
      - .offset:         224
        .size:           8
        .value_kind:     hidden_global_offset_x
      - .offset:         232
        .size:           8
        .value_kind:     hidden_global_offset_y
      - .offset:         240
        .size:           8
        .value_kind:     hidden_global_offset_z
      - .offset:         248
        .size:           2
        .value_kind:     hidden_grid_dims
    .group_segment_fixed_size: 0
    .kernarg_segment_align: 8
    .kernarg_segment_size: 440
    .language:       OpenCL C
    .language_version:
      - 2
      - 0
    .max_flat_workgroup_size: 1024
    .name:           _ZN2at6native12_GLOBAL__N_132conv_depthwise2d_backward_kernelILi5ELi1EfiEEvN5torch10headeronly6detail27GenericPackedTensorAccessorINS5_14TensorAccessorIN3c108ArrayRefIlEEKT1_Lm3ENS4_16DefaultPtrTraitsEiEENS_6detail16IndexBoundsCheckILm4EiEESC_Lm4ESD_iEENS6_INS7_ISA_SB_Lm3ESD_iEESH_SB_Lm4ESD_iEESI_T2_iiiiiiiiiiiiiii
    .private_segment_fixed_size: 0
    .sgpr_count:     100
    .sgpr_spill_count: 3
    .symbol:         _ZN2at6native12_GLOBAL__N_132conv_depthwise2d_backward_kernelILi5ELi1EfiEEvN5torch10headeronly6detail27GenericPackedTensorAccessorINS5_14TensorAccessorIN3c108ArrayRefIlEEKT1_Lm3ENS4_16DefaultPtrTraitsEiEENS_6detail16IndexBoundsCheckILm4EiEESC_Lm4ESD_iEENS6_INS7_ISA_SB_Lm3ESD_iEESH_SB_Lm4ESD_iEESI_T2_iiiiiiiiiiiiiii.kd
    .uniform_work_group_size: 1
    .uses_dynamic_stack: false
    .vgpr_count:     44
    .vgpr_spill_count: 0
    .wavefront_size: 64
  - .args:
      - .offset:         0
        .size:           40
        .value_kind:     by_value
      - .offset:         40
        .size:           40
        .value_kind:     by_value
      - .offset:         80
        .size:           40
        .value_kind:     by_value
      - .offset:         120
        .size:           4
        .value_kind:     by_value
      - .offset:         124
        .size:           4
        .value_kind:     by_value
      - .offset:         128
        .size:           4
        .value_kind:     by_value
      - .offset:         132
        .size:           4
        .value_kind:     by_value
      - .offset:         136
        .size:           4
        .value_kind:     by_value
      - .offset:         140
        .size:           4
        .value_kind:     by_value
      - .offset:         144
        .size:           4
        .value_kind:     by_value
      - .offset:         148
        .size:           4
        .value_kind:     by_value
      - .offset:         152
        .size:           4
        .value_kind:     by_value
      - .offset:         156
        .size:           4
        .value_kind:     by_value
      - .offset:         160
        .size:           4
        .value_kind:     by_value
      - .offset:         164
        .size:           4
        .value_kind:     by_value
      - .offset:         168
        .size:           4
        .value_kind:     by_value
      - .offset:         172
        .size:           4
        .value_kind:     by_value
      - .offset:         176
        .size:           4
        .value_kind:     by_value
      - .offset:         180
        .size:           4
        .value_kind:     by_value
      - .offset:         184
        .size:           4
        .value_kind:     hidden_block_count_x
      - .offset:         188
        .size:           4
        .value_kind:     hidden_block_count_y
      - .offset:         192
        .size:           4
        .value_kind:     hidden_block_count_z
      - .offset:         196
        .size:           2
        .value_kind:     hidden_group_size_x
      - .offset:         198
        .size:           2
        .value_kind:     hidden_group_size_y
      - .offset:         200
        .size:           2
        .value_kind:     hidden_group_size_z
      - .offset:         202
        .size:           2
        .value_kind:     hidden_remainder_x
      - .offset:         204
        .size:           2
        .value_kind:     hidden_remainder_y
      - .offset:         206
        .size:           2
        .value_kind:     hidden_remainder_z
      - .offset:         224
        .size:           8
        .value_kind:     hidden_global_offset_x
      - .offset:         232
        .size:           8
        .value_kind:     hidden_global_offset_y
      - .offset:         240
        .size:           8
        .value_kind:     hidden_global_offset_z
      - .offset:         248
        .size:           2
        .value_kind:     hidden_grid_dims
    .group_segment_fixed_size: 0
    .kernarg_segment_align: 8
    .kernarg_segment_size: 440
    .language:       OpenCL C
    .language_version:
      - 2
      - 0
    .max_flat_workgroup_size: 1024
    .name:           _ZN2at6native12_GLOBAL__N_132conv_depthwise2d_backward_kernelILi5ELi2EfiEEvN5torch10headeronly6detail27GenericPackedTensorAccessorINS5_14TensorAccessorIN3c108ArrayRefIlEEKT1_Lm3ENS4_16DefaultPtrTraitsEiEENS_6detail16IndexBoundsCheckILm4EiEESC_Lm4ESD_iEENS6_INS7_ISA_SB_Lm3ESD_iEESH_SB_Lm4ESD_iEESI_T2_iiiiiiiiiiiiiii
    .private_segment_fixed_size: 0
    .sgpr_count:     94
    .sgpr_spill_count: 0
    .symbol:         _ZN2at6native12_GLOBAL__N_132conv_depthwise2d_backward_kernelILi5ELi2EfiEEvN5torch10headeronly6detail27GenericPackedTensorAccessorINS5_14TensorAccessorIN3c108ArrayRefIlEEKT1_Lm3ENS4_16DefaultPtrTraitsEiEENS_6detail16IndexBoundsCheckILm4EiEESC_Lm4ESD_iEENS6_INS7_ISA_SB_Lm3ESD_iEESH_SB_Lm4ESD_iEESI_T2_iiiiiiiiiiiiiii.kd
    .uniform_work_group_size: 1
    .uses_dynamic_stack: false
    .vgpr_count:     37
    .vgpr_spill_count: 0
    .wavefront_size: 64
  - .args:
      - .offset:         0
        .size:           40
        .value_kind:     by_value
      - .offset:         40
        .size:           40
        .value_kind:     by_value
      - .offset:         80
        .size:           40
        .value_kind:     by_value
      - .offset:         120
        .size:           4
        .value_kind:     by_value
      - .offset:         124
        .size:           4
        .value_kind:     by_value
      - .offset:         128
        .size:           4
        .value_kind:     by_value
      - .offset:         132
        .size:           4
        .value_kind:     by_value
      - .offset:         136
        .size:           4
        .value_kind:     by_value
      - .offset:         140
        .size:           4
        .value_kind:     by_value
      - .offset:         144
        .size:           4
        .value_kind:     by_value
      - .offset:         148
        .size:           4
        .value_kind:     by_value
      - .offset:         152
        .size:           4
        .value_kind:     by_value
      - .offset:         156
        .size:           4
        .value_kind:     by_value
      - .offset:         160
        .size:           4
        .value_kind:     by_value
      - .offset:         164
        .size:           4
        .value_kind:     by_value
      - .offset:         168
        .size:           4
        .value_kind:     by_value
      - .offset:         172
        .size:           4
        .value_kind:     by_value
      - .offset:         176
        .size:           4
        .value_kind:     by_value
      - .offset:         180
        .size:           4
        .value_kind:     by_value
      - .offset:         184
        .size:           4
        .value_kind:     hidden_block_count_x
      - .offset:         188
        .size:           4
        .value_kind:     hidden_block_count_y
      - .offset:         192
        .size:           4
        .value_kind:     hidden_block_count_z
      - .offset:         196
        .size:           2
        .value_kind:     hidden_group_size_x
      - .offset:         198
        .size:           2
        .value_kind:     hidden_group_size_y
      - .offset:         200
        .size:           2
        .value_kind:     hidden_group_size_z
      - .offset:         202
        .size:           2
        .value_kind:     hidden_remainder_x
      - .offset:         204
        .size:           2
        .value_kind:     hidden_remainder_y
      - .offset:         206
        .size:           2
        .value_kind:     hidden_remainder_z
      - .offset:         224
        .size:           8
        .value_kind:     hidden_global_offset_x
      - .offset:         232
        .size:           8
        .value_kind:     hidden_global_offset_y
      - .offset:         240
        .size:           8
        .value_kind:     hidden_global_offset_z
      - .offset:         248
        .size:           2
        .value_kind:     hidden_grid_dims
    .group_segment_fixed_size: 0
    .kernarg_segment_align: 8
    .kernarg_segment_size: 440
    .language:       OpenCL C
    .language_version:
      - 2
      - 0
    .max_flat_workgroup_size: 1024
    .name:           _ZN2at6native12_GLOBAL__N_132conv_depthwise2d_backward_kernelILi5ELi0EfiEEvN5torch10headeronly6detail27GenericPackedTensorAccessorINS5_14TensorAccessorIN3c108ArrayRefIlEEKT1_Lm3ENS4_16DefaultPtrTraitsEiEENS_6detail16IndexBoundsCheckILm4EiEESC_Lm4ESD_iEENS6_INS7_ISA_SB_Lm3ESD_iEESH_SB_Lm4ESD_iEESI_T2_iiiiiiiiiiiiiii
    .private_segment_fixed_size: 0
    .sgpr_count:     100
    .sgpr_spill_count: 42
    .symbol:         _ZN2at6native12_GLOBAL__N_132conv_depthwise2d_backward_kernelILi5ELi0EfiEEvN5torch10headeronly6detail27GenericPackedTensorAccessorINS5_14TensorAccessorIN3c108ArrayRefIlEEKT1_Lm3ENS4_16DefaultPtrTraitsEiEENS_6detail16IndexBoundsCheckILm4EiEESC_Lm4ESD_iEENS6_INS7_ISA_SB_Lm3ESD_iEESH_SB_Lm4ESD_iEESI_T2_iiiiiiiiiiiiiii.kd
    .uniform_work_group_size: 1
    .uses_dynamic_stack: false
    .vgpr_count:     45
    .vgpr_spill_count: 0
    .wavefront_size: 64
  - .args:
      - .offset:         0
        .size:           40
        .value_kind:     by_value
      - .offset:         40
        .size:           40
        .value_kind:     by_value
      - .offset:         80
        .size:           40
        .value_kind:     by_value
      - .offset:         120
        .size:           4
        .value_kind:     by_value
      - .offset:         124
        .size:           4
        .value_kind:     by_value
      - .offset:         128
        .size:           4
        .value_kind:     by_value
      - .offset:         132
        .size:           4
        .value_kind:     by_value
      - .offset:         136
        .size:           4
        .value_kind:     by_value
      - .offset:         140
        .size:           4
        .value_kind:     by_value
      - .offset:         144
        .size:           4
        .value_kind:     by_value
      - .offset:         148
        .size:           4
        .value_kind:     by_value
      - .offset:         152
        .size:           4
        .value_kind:     by_value
      - .offset:         156
        .size:           4
        .value_kind:     by_value
      - .offset:         160
        .size:           4
        .value_kind:     by_value
      - .offset:         164
        .size:           4
        .value_kind:     by_value
      - .offset:         168
        .size:           4
        .value_kind:     by_value
      - .offset:         172
        .size:           4
        .value_kind:     by_value
      - .offset:         176
        .size:           4
        .value_kind:     by_value
      - .offset:         180
        .size:           4
        .value_kind:     by_value
      - .offset:         184
        .size:           4
        .value_kind:     hidden_block_count_x
      - .offset:         188
        .size:           4
        .value_kind:     hidden_block_count_y
      - .offset:         192
        .size:           4
        .value_kind:     hidden_block_count_z
      - .offset:         196
        .size:           2
        .value_kind:     hidden_group_size_x
      - .offset:         198
        .size:           2
        .value_kind:     hidden_group_size_y
      - .offset:         200
        .size:           2
        .value_kind:     hidden_group_size_z
      - .offset:         202
        .size:           2
        .value_kind:     hidden_remainder_x
      - .offset:         204
        .size:           2
        .value_kind:     hidden_remainder_y
      - .offset:         206
        .size:           2
        .value_kind:     hidden_remainder_z
      - .offset:         224
        .size:           8
        .value_kind:     hidden_global_offset_x
      - .offset:         232
        .size:           8
        .value_kind:     hidden_global_offset_y
      - .offset:         240
        .size:           8
        .value_kind:     hidden_global_offset_z
      - .offset:         248
        .size:           2
        .value_kind:     hidden_grid_dims
    .group_segment_fixed_size: 0
    .kernarg_segment_align: 8
    .kernarg_segment_size: 440
    .language:       OpenCL C
    .language_version:
      - 2
      - 0
    .max_flat_workgroup_size: 1024
    .name:           _ZN2at6native12_GLOBAL__N_132conv_depthwise2d_backward_kernelILi3ELi1EfiEEvN5torch10headeronly6detail27GenericPackedTensorAccessorINS5_14TensorAccessorIN3c108ArrayRefIlEEKT1_Lm3ENS4_16DefaultPtrTraitsEiEENS_6detail16IndexBoundsCheckILm4EiEESC_Lm4ESD_iEENS6_INS7_ISA_SB_Lm3ESD_iEESH_SB_Lm4ESD_iEESI_T2_iiiiiiiiiiiiiii
    .private_segment_fixed_size: 0
    .sgpr_count:     72
    .sgpr_spill_count: 0
    .symbol:         _ZN2at6native12_GLOBAL__N_132conv_depthwise2d_backward_kernelILi3ELi1EfiEEvN5torch10headeronly6detail27GenericPackedTensorAccessorINS5_14TensorAccessorIN3c108ArrayRefIlEEKT1_Lm3ENS4_16DefaultPtrTraitsEiEENS_6detail16IndexBoundsCheckILm4EiEESC_Lm4ESD_iEENS6_INS7_ISA_SB_Lm3ESD_iEESH_SB_Lm4ESD_iEESI_T2_iiiiiiiiiiiiiii.kd
    .uniform_work_group_size: 1
    .uses_dynamic_stack: false
    .vgpr_count:     25
    .vgpr_spill_count: 0
    .wavefront_size: 64
  - .args:
      - .offset:         0
        .size:           40
        .value_kind:     by_value
      - .offset:         40
        .size:           40
        .value_kind:     by_value
      - .offset:         80
        .size:           40
        .value_kind:     by_value
      - .offset:         120
        .size:           4
        .value_kind:     by_value
      - .offset:         124
        .size:           4
        .value_kind:     by_value
      - .offset:         128
        .size:           4
        .value_kind:     by_value
      - .offset:         132
        .size:           4
        .value_kind:     by_value
      - .offset:         136
        .size:           4
        .value_kind:     by_value
      - .offset:         140
        .size:           4
        .value_kind:     by_value
      - .offset:         144
        .size:           4
        .value_kind:     by_value
      - .offset:         148
        .size:           4
        .value_kind:     by_value
      - .offset:         152
        .size:           4
        .value_kind:     by_value
      - .offset:         156
        .size:           4
        .value_kind:     by_value
      - .offset:         160
        .size:           4
        .value_kind:     by_value
      - .offset:         164
        .size:           4
        .value_kind:     by_value
      - .offset:         168
        .size:           4
        .value_kind:     by_value
      - .offset:         172
        .size:           4
        .value_kind:     by_value
      - .offset:         176
        .size:           4
        .value_kind:     by_value
      - .offset:         180
        .size:           4
        .value_kind:     by_value
      - .offset:         184
        .size:           4
        .value_kind:     hidden_block_count_x
      - .offset:         188
        .size:           4
        .value_kind:     hidden_block_count_y
      - .offset:         192
        .size:           4
        .value_kind:     hidden_block_count_z
      - .offset:         196
        .size:           2
        .value_kind:     hidden_group_size_x
      - .offset:         198
        .size:           2
        .value_kind:     hidden_group_size_y
      - .offset:         200
        .size:           2
        .value_kind:     hidden_group_size_z
      - .offset:         202
        .size:           2
        .value_kind:     hidden_remainder_x
      - .offset:         204
        .size:           2
        .value_kind:     hidden_remainder_y
      - .offset:         206
        .size:           2
        .value_kind:     hidden_remainder_z
      - .offset:         224
        .size:           8
        .value_kind:     hidden_global_offset_x
      - .offset:         232
        .size:           8
        .value_kind:     hidden_global_offset_y
      - .offset:         240
        .size:           8
        .value_kind:     hidden_global_offset_z
      - .offset:         248
        .size:           2
        .value_kind:     hidden_grid_dims
    .group_segment_fixed_size: 0
    .kernarg_segment_align: 8
    .kernarg_segment_size: 440
    .language:       OpenCL C
    .language_version:
      - 2
      - 0
    .max_flat_workgroup_size: 1024
    .name:           _ZN2at6native12_GLOBAL__N_132conv_depthwise2d_backward_kernelILi3ELi2EfiEEvN5torch10headeronly6detail27GenericPackedTensorAccessorINS5_14TensorAccessorIN3c108ArrayRefIlEEKT1_Lm3ENS4_16DefaultPtrTraitsEiEENS_6detail16IndexBoundsCheckILm4EiEESC_Lm4ESD_iEENS6_INS7_ISA_SB_Lm3ESD_iEESH_SB_Lm4ESD_iEESI_T2_iiiiiiiiiiiiiii
    .private_segment_fixed_size: 0
    .sgpr_count:     80
    .sgpr_spill_count: 0
    .symbol:         _ZN2at6native12_GLOBAL__N_132conv_depthwise2d_backward_kernelILi3ELi2EfiEEvN5torch10headeronly6detail27GenericPackedTensorAccessorINS5_14TensorAccessorIN3c108ArrayRefIlEEKT1_Lm3ENS4_16DefaultPtrTraitsEiEENS_6detail16IndexBoundsCheckILm4EiEESC_Lm4ESD_iEENS6_INS7_ISA_SB_Lm3ESD_iEESH_SB_Lm4ESD_iEESI_T2_iiiiiiiiiiiiiii.kd
    .uniform_work_group_size: 1
    .uses_dynamic_stack: false
    .vgpr_count:     21
    .vgpr_spill_count: 0
    .wavefront_size: 64
  - .args:
      - .offset:         0
        .size:           40
        .value_kind:     by_value
      - .offset:         40
        .size:           40
        .value_kind:     by_value
      - .offset:         80
        .size:           40
        .value_kind:     by_value
      - .offset:         120
        .size:           4
        .value_kind:     by_value
      - .offset:         124
        .size:           4
        .value_kind:     by_value
      - .offset:         128
        .size:           4
        .value_kind:     by_value
      - .offset:         132
        .size:           4
        .value_kind:     by_value
      - .offset:         136
        .size:           4
        .value_kind:     by_value
      - .offset:         140
        .size:           4
        .value_kind:     by_value
      - .offset:         144
        .size:           4
        .value_kind:     by_value
      - .offset:         148
        .size:           4
        .value_kind:     by_value
      - .offset:         152
        .size:           4
        .value_kind:     by_value
      - .offset:         156
        .size:           4
        .value_kind:     by_value
      - .offset:         160
        .size:           4
        .value_kind:     by_value
      - .offset:         164
        .size:           4
        .value_kind:     by_value
      - .offset:         168
        .size:           4
        .value_kind:     by_value
      - .offset:         172
        .size:           4
        .value_kind:     by_value
      - .offset:         176
        .size:           4
        .value_kind:     by_value
      - .offset:         180
        .size:           4
        .value_kind:     by_value
      - .offset:         184
        .size:           4
        .value_kind:     hidden_block_count_x
      - .offset:         188
        .size:           4
        .value_kind:     hidden_block_count_y
      - .offset:         192
        .size:           4
        .value_kind:     hidden_block_count_z
      - .offset:         196
        .size:           2
        .value_kind:     hidden_group_size_x
      - .offset:         198
        .size:           2
        .value_kind:     hidden_group_size_y
      - .offset:         200
        .size:           2
        .value_kind:     hidden_group_size_z
      - .offset:         202
        .size:           2
        .value_kind:     hidden_remainder_x
      - .offset:         204
        .size:           2
        .value_kind:     hidden_remainder_y
      - .offset:         206
        .size:           2
        .value_kind:     hidden_remainder_z
      - .offset:         224
        .size:           8
        .value_kind:     hidden_global_offset_x
      - .offset:         232
        .size:           8
        .value_kind:     hidden_global_offset_y
      - .offset:         240
        .size:           8
        .value_kind:     hidden_global_offset_z
      - .offset:         248
        .size:           2
        .value_kind:     hidden_grid_dims
    .group_segment_fixed_size: 0
    .kernarg_segment_align: 8
    .kernarg_segment_size: 440
    .language:       OpenCL C
    .language_version:
      - 2
      - 0
    .max_flat_workgroup_size: 1024
    .name:           _ZN2at6native12_GLOBAL__N_132conv_depthwise2d_backward_kernelILi3ELi0EfiEEvN5torch10headeronly6detail27GenericPackedTensorAccessorINS5_14TensorAccessorIN3c108ArrayRefIlEEKT1_Lm3ENS4_16DefaultPtrTraitsEiEENS_6detail16IndexBoundsCheckILm4EiEESC_Lm4ESD_iEENS6_INS7_ISA_SB_Lm3ESD_iEESH_SB_Lm4ESD_iEESI_T2_iiiiiiiiiiiiiii
    .private_segment_fixed_size: 0
    .sgpr_count:     96
    .sgpr_spill_count: 0
    .symbol:         _ZN2at6native12_GLOBAL__N_132conv_depthwise2d_backward_kernelILi3ELi0EfiEEvN5torch10headeronly6detail27GenericPackedTensorAccessorINS5_14TensorAccessorIN3c108ArrayRefIlEEKT1_Lm3ENS4_16DefaultPtrTraitsEiEENS_6detail16IndexBoundsCheckILm4EiEESC_Lm4ESD_iEENS6_INS7_ISA_SB_Lm3ESD_iEESH_SB_Lm4ESD_iEESI_T2_iiiiiiiiiiiiiii.kd
    .uniform_work_group_size: 1
    .uses_dynamic_stack: false
    .vgpr_count:     29
    .vgpr_spill_count: 0
    .wavefront_size: 64
  - .args:
      - .offset:         0
        .size:           40
        .value_kind:     by_value
      - .offset:         40
        .size:           40
        .value_kind:     by_value
      - .offset:         80
        .size:           40
        .value_kind:     by_value
      - .offset:         120
        .size:           4
        .value_kind:     by_value
      - .offset:         124
        .size:           4
        .value_kind:     by_value
      - .offset:         128
        .size:           4
        .value_kind:     by_value
      - .offset:         132
        .size:           4
        .value_kind:     by_value
      - .offset:         136
        .size:           4
        .value_kind:     by_value
      - .offset:         140
        .size:           4
        .value_kind:     by_value
      - .offset:         144
        .size:           4
        .value_kind:     by_value
      - .offset:         148
        .size:           4
        .value_kind:     by_value
      - .offset:         152
        .size:           4
        .value_kind:     by_value
      - .offset:         156
        .size:           4
        .value_kind:     by_value
      - .offset:         160
        .size:           4
        .value_kind:     by_value
      - .offset:         164
        .size:           4
        .value_kind:     by_value
      - .offset:         168
        .size:           4
        .value_kind:     by_value
      - .offset:         172
        .size:           4
        .value_kind:     by_value
      - .offset:         176
        .size:           4
        .value_kind:     by_value
      - .offset:         180
        .size:           4
        .value_kind:     by_value
      - .offset:         184
        .size:           4
        .value_kind:     hidden_block_count_x
      - .offset:         188
        .size:           4
        .value_kind:     hidden_block_count_y
      - .offset:         192
        .size:           4
        .value_kind:     hidden_block_count_z
      - .offset:         196
        .size:           2
        .value_kind:     hidden_group_size_x
      - .offset:         198
        .size:           2
        .value_kind:     hidden_group_size_y
      - .offset:         200
        .size:           2
        .value_kind:     hidden_group_size_z
      - .offset:         202
        .size:           2
        .value_kind:     hidden_remainder_x
      - .offset:         204
        .size:           2
        .value_kind:     hidden_remainder_y
      - .offset:         206
        .size:           2
        .value_kind:     hidden_remainder_z
      - .offset:         224
        .size:           8
        .value_kind:     hidden_global_offset_x
      - .offset:         232
        .size:           8
        .value_kind:     hidden_global_offset_y
      - .offset:         240
        .size:           8
        .value_kind:     hidden_global_offset_z
      - .offset:         248
        .size:           2
        .value_kind:     hidden_grid_dims
    .group_segment_fixed_size: 0
    .kernarg_segment_align: 8
    .kernarg_segment_size: 440
    .language:       OpenCL C
    .language_version:
      - 2
      - 0
    .max_flat_workgroup_size: 1024
    .name:           _ZN2at6native12_GLOBAL__N_132conv_depthwise2d_backward_kernelILi1ELi1EfiEEvN5torch10headeronly6detail27GenericPackedTensorAccessorINS5_14TensorAccessorIN3c108ArrayRefIlEEKT1_Lm3ENS4_16DefaultPtrTraitsEiEENS_6detail16IndexBoundsCheckILm4EiEESC_Lm4ESD_iEENS6_INS7_ISA_SB_Lm3ESD_iEESH_SB_Lm4ESD_iEESI_T2_iiiiiiiiiiiiiii
    .private_segment_fixed_size: 0
    .sgpr_count:     44
    .sgpr_spill_count: 0
    .symbol:         _ZN2at6native12_GLOBAL__N_132conv_depthwise2d_backward_kernelILi1ELi1EfiEEvN5torch10headeronly6detail27GenericPackedTensorAccessorINS5_14TensorAccessorIN3c108ArrayRefIlEEKT1_Lm3ENS4_16DefaultPtrTraitsEiEENS_6detail16IndexBoundsCheckILm4EiEESC_Lm4ESD_iEENS6_INS7_ISA_SB_Lm3ESD_iEESH_SB_Lm4ESD_iEESI_T2_iiiiiiiiiiiiiii.kd
    .uniform_work_group_size: 1
    .uses_dynamic_stack: false
    .vgpr_count:     15
    .vgpr_spill_count: 0
    .wavefront_size: 64
  - .args:
      - .offset:         0
        .size:           40
        .value_kind:     by_value
      - .offset:         40
        .size:           40
        .value_kind:     by_value
      - .offset:         80
        .size:           40
        .value_kind:     by_value
      - .offset:         120
        .size:           4
        .value_kind:     by_value
      - .offset:         124
        .size:           4
        .value_kind:     by_value
      - .offset:         128
        .size:           4
        .value_kind:     by_value
      - .offset:         132
        .size:           4
        .value_kind:     by_value
      - .offset:         136
        .size:           4
        .value_kind:     by_value
      - .offset:         140
        .size:           4
        .value_kind:     by_value
      - .offset:         144
        .size:           4
        .value_kind:     by_value
      - .offset:         148
        .size:           4
        .value_kind:     by_value
      - .offset:         152
        .size:           4
        .value_kind:     by_value
      - .offset:         156
        .size:           4
        .value_kind:     by_value
      - .offset:         160
        .size:           4
        .value_kind:     by_value
      - .offset:         164
        .size:           4
        .value_kind:     by_value
      - .offset:         168
        .size:           4
        .value_kind:     by_value
      - .offset:         172
        .size:           4
        .value_kind:     by_value
      - .offset:         176
        .size:           4
        .value_kind:     by_value
      - .offset:         180
        .size:           4
        .value_kind:     by_value
      - .offset:         184
        .size:           4
        .value_kind:     hidden_block_count_x
      - .offset:         188
        .size:           4
        .value_kind:     hidden_block_count_y
      - .offset:         192
        .size:           4
        .value_kind:     hidden_block_count_z
      - .offset:         196
        .size:           2
        .value_kind:     hidden_group_size_x
      - .offset:         198
        .size:           2
        .value_kind:     hidden_group_size_y
      - .offset:         200
        .size:           2
        .value_kind:     hidden_group_size_z
      - .offset:         202
        .size:           2
        .value_kind:     hidden_remainder_x
      - .offset:         204
        .size:           2
        .value_kind:     hidden_remainder_y
      - .offset:         206
        .size:           2
        .value_kind:     hidden_remainder_z
      - .offset:         224
        .size:           8
        .value_kind:     hidden_global_offset_x
      - .offset:         232
        .size:           8
        .value_kind:     hidden_global_offset_y
      - .offset:         240
        .size:           8
        .value_kind:     hidden_global_offset_z
      - .offset:         248
        .size:           2
        .value_kind:     hidden_grid_dims
    .group_segment_fixed_size: 0
    .kernarg_segment_align: 8
    .kernarg_segment_size: 440
    .language:       OpenCL C
    .language_version:
      - 2
      - 0
    .max_flat_workgroup_size: 1024
    .name:           _ZN2at6native12_GLOBAL__N_132conv_depthwise2d_backward_kernelILi1ELi2EfiEEvN5torch10headeronly6detail27GenericPackedTensorAccessorINS5_14TensorAccessorIN3c108ArrayRefIlEEKT1_Lm3ENS4_16DefaultPtrTraitsEiEENS_6detail16IndexBoundsCheckILm4EiEESC_Lm4ESD_iEENS6_INS7_ISA_SB_Lm3ESD_iEESH_SB_Lm4ESD_iEESI_T2_iiiiiiiiiiiiiii
    .private_segment_fixed_size: 0
    .sgpr_count:     46
    .sgpr_spill_count: 0
    .symbol:         _ZN2at6native12_GLOBAL__N_132conv_depthwise2d_backward_kernelILi1ELi2EfiEEvN5torch10headeronly6detail27GenericPackedTensorAccessorINS5_14TensorAccessorIN3c108ArrayRefIlEEKT1_Lm3ENS4_16DefaultPtrTraitsEiEENS_6detail16IndexBoundsCheckILm4EiEESC_Lm4ESD_iEENS6_INS7_ISA_SB_Lm3ESD_iEESH_SB_Lm4ESD_iEESI_T2_iiiiiiiiiiiiiii.kd
    .uniform_work_group_size: 1
    .uses_dynamic_stack: false
    .vgpr_count:     14
    .vgpr_spill_count: 0
    .wavefront_size: 64
  - .args:
      - .offset:         0
        .size:           40
        .value_kind:     by_value
      - .offset:         40
        .size:           40
        .value_kind:     by_value
      - .offset:         80
        .size:           40
        .value_kind:     by_value
      - .offset:         120
        .size:           4
        .value_kind:     by_value
      - .offset:         124
        .size:           4
        .value_kind:     by_value
      - .offset:         128
        .size:           4
        .value_kind:     by_value
      - .offset:         132
        .size:           4
        .value_kind:     by_value
      - .offset:         136
        .size:           4
        .value_kind:     by_value
      - .offset:         140
        .size:           4
        .value_kind:     by_value
      - .offset:         144
        .size:           4
        .value_kind:     by_value
      - .offset:         148
        .size:           4
        .value_kind:     by_value
      - .offset:         152
        .size:           4
        .value_kind:     by_value
      - .offset:         156
        .size:           4
        .value_kind:     by_value
      - .offset:         160
        .size:           4
        .value_kind:     by_value
      - .offset:         164
        .size:           4
        .value_kind:     by_value
      - .offset:         168
        .size:           4
        .value_kind:     by_value
      - .offset:         172
        .size:           4
        .value_kind:     by_value
      - .offset:         176
        .size:           4
        .value_kind:     by_value
      - .offset:         180
        .size:           4
        .value_kind:     by_value
      - .offset:         184
        .size:           4
        .value_kind:     hidden_block_count_x
      - .offset:         188
        .size:           4
        .value_kind:     hidden_block_count_y
      - .offset:         192
        .size:           4
        .value_kind:     hidden_block_count_z
      - .offset:         196
        .size:           2
        .value_kind:     hidden_group_size_x
      - .offset:         198
        .size:           2
        .value_kind:     hidden_group_size_y
      - .offset:         200
        .size:           2
        .value_kind:     hidden_group_size_z
      - .offset:         202
        .size:           2
        .value_kind:     hidden_remainder_x
      - .offset:         204
        .size:           2
        .value_kind:     hidden_remainder_y
      - .offset:         206
        .size:           2
        .value_kind:     hidden_remainder_z
      - .offset:         224
        .size:           8
        .value_kind:     hidden_global_offset_x
      - .offset:         232
        .size:           8
        .value_kind:     hidden_global_offset_y
      - .offset:         240
        .size:           8
        .value_kind:     hidden_global_offset_z
      - .offset:         248
        .size:           2
        .value_kind:     hidden_grid_dims
    .group_segment_fixed_size: 0
    .kernarg_segment_align: 8
    .kernarg_segment_size: 440
    .language:       OpenCL C
    .language_version:
      - 2
      - 0
    .max_flat_workgroup_size: 1024
    .name:           _ZN2at6native12_GLOBAL__N_132conv_depthwise2d_backward_kernelILi1ELi0EfiEEvN5torch10headeronly6detail27GenericPackedTensorAccessorINS5_14TensorAccessorIN3c108ArrayRefIlEEKT1_Lm3ENS4_16DefaultPtrTraitsEiEENS_6detail16IndexBoundsCheckILm4EiEESC_Lm4ESD_iEENS6_INS7_ISA_SB_Lm3ESD_iEESH_SB_Lm4ESD_iEESI_T2_iiiiiiiiiiiiiii
    .private_segment_fixed_size: 0
    .sgpr_count:     55
    .sgpr_spill_count: 0
    .symbol:         _ZN2at6native12_GLOBAL__N_132conv_depthwise2d_backward_kernelILi1ELi0EfiEEvN5torch10headeronly6detail27GenericPackedTensorAccessorINS5_14TensorAccessorIN3c108ArrayRefIlEEKT1_Lm3ENS4_16DefaultPtrTraitsEiEENS_6detail16IndexBoundsCheckILm4EiEESC_Lm4ESD_iEENS6_INS7_ISA_SB_Lm3ESD_iEESH_SB_Lm4ESD_iEESI_T2_iiiiiiiiiiiiiii.kd
    .uniform_work_group_size: 1
    .uses_dynamic_stack: false
    .vgpr_count:     18
    .vgpr_spill_count: 0
    .wavefront_size: 64
  - .args:
      - .offset:         0
        .size:           40
        .value_kind:     by_value
      - .offset:         40
        .size:           40
        .value_kind:     by_value
      - .offset:         80
        .size:           40
        .value_kind:     by_value
      - .offset:         120
        .size:           4
        .value_kind:     by_value
      - .offset:         124
        .size:           4
        .value_kind:     by_value
      - .offset:         128
        .size:           4
        .value_kind:     by_value
      - .offset:         132
        .size:           4
        .value_kind:     by_value
      - .offset:         136
        .size:           4
        .value_kind:     by_value
      - .offset:         140
        .size:           4
        .value_kind:     by_value
      - .offset:         144
        .size:           4
        .value_kind:     by_value
      - .offset:         148
        .size:           4
        .value_kind:     by_value
      - .offset:         152
        .size:           4
        .value_kind:     by_value
      - .offset:         156
        .size:           4
        .value_kind:     by_value
      - .offset:         160
        .size:           4
        .value_kind:     by_value
      - .offset:         164
        .size:           4
        .value_kind:     by_value
      - .offset:         168
        .size:           4
        .value_kind:     by_value
      - .offset:         172
        .size:           4
        .value_kind:     by_value
      - .offset:         176
        .size:           4
        .value_kind:     by_value
      - .offset:         180
        .size:           4
        .value_kind:     by_value
      - .offset:         184
        .size:           4
        .value_kind:     hidden_block_count_x
      - .offset:         188
        .size:           4
        .value_kind:     hidden_block_count_y
      - .offset:         192
        .size:           4
        .value_kind:     hidden_block_count_z
      - .offset:         196
        .size:           2
        .value_kind:     hidden_group_size_x
      - .offset:         198
        .size:           2
        .value_kind:     hidden_group_size_y
      - .offset:         200
        .size:           2
        .value_kind:     hidden_group_size_z
      - .offset:         202
        .size:           2
        .value_kind:     hidden_remainder_x
      - .offset:         204
        .size:           2
        .value_kind:     hidden_remainder_y
      - .offset:         206
        .size:           2
        .value_kind:     hidden_remainder_z
      - .offset:         224
        .size:           8
        .value_kind:     hidden_global_offset_x
      - .offset:         232
        .size:           8
        .value_kind:     hidden_global_offset_y
      - .offset:         240
        .size:           8
        .value_kind:     hidden_global_offset_z
      - .offset:         248
        .size:           2
        .value_kind:     hidden_grid_dims
    .group_segment_fixed_size: 0
    .kernarg_segment_align: 8
    .kernarg_segment_size: 440
    .language:       OpenCL C
    .language_version:
      - 2
      - 0
    .max_flat_workgroup_size: 1024
    .name:           _ZN2at6native12_GLOBAL__N_132conv_depthwise2d_backward_kernelILi0ELi1EfiEEvN5torch10headeronly6detail27GenericPackedTensorAccessorINS5_14TensorAccessorIN3c108ArrayRefIlEEKT1_Lm3ENS4_16DefaultPtrTraitsEiEENS_6detail16IndexBoundsCheckILm4EiEESC_Lm4ESD_iEENS6_INS7_ISA_SB_Lm3ESD_iEESH_SB_Lm4ESD_iEESI_T2_iiiiiiiiiiiiiii
    .private_segment_fixed_size: 0
    .sgpr_count:     56
    .sgpr_spill_count: 0
    .symbol:         _ZN2at6native12_GLOBAL__N_132conv_depthwise2d_backward_kernelILi0ELi1EfiEEvN5torch10headeronly6detail27GenericPackedTensorAccessorINS5_14TensorAccessorIN3c108ArrayRefIlEEKT1_Lm3ENS4_16DefaultPtrTraitsEiEENS_6detail16IndexBoundsCheckILm4EiEESC_Lm4ESD_iEENS6_INS7_ISA_SB_Lm3ESD_iEESH_SB_Lm4ESD_iEESI_T2_iiiiiiiiiiiiiii.kd
    .uniform_work_group_size: 1
    .uses_dynamic_stack: false
    .vgpr_count:     21
    .vgpr_spill_count: 0
    .wavefront_size: 64
  - .args:
      - .offset:         0
        .size:           40
        .value_kind:     by_value
      - .offset:         40
        .size:           40
        .value_kind:     by_value
      - .offset:         80
        .size:           40
        .value_kind:     by_value
      - .offset:         120
        .size:           4
        .value_kind:     by_value
      - .offset:         124
        .size:           4
        .value_kind:     by_value
      - .offset:         128
        .size:           4
        .value_kind:     by_value
      - .offset:         132
        .size:           4
        .value_kind:     by_value
      - .offset:         136
        .size:           4
        .value_kind:     by_value
      - .offset:         140
        .size:           4
        .value_kind:     by_value
      - .offset:         144
        .size:           4
        .value_kind:     by_value
      - .offset:         148
        .size:           4
        .value_kind:     by_value
      - .offset:         152
        .size:           4
        .value_kind:     by_value
      - .offset:         156
        .size:           4
        .value_kind:     by_value
      - .offset:         160
        .size:           4
        .value_kind:     by_value
      - .offset:         164
        .size:           4
        .value_kind:     by_value
      - .offset:         168
        .size:           4
        .value_kind:     by_value
      - .offset:         172
        .size:           4
        .value_kind:     by_value
      - .offset:         176
        .size:           4
        .value_kind:     by_value
      - .offset:         180
        .size:           4
        .value_kind:     by_value
      - .offset:         184
        .size:           4
        .value_kind:     hidden_block_count_x
      - .offset:         188
        .size:           4
        .value_kind:     hidden_block_count_y
      - .offset:         192
        .size:           4
        .value_kind:     hidden_block_count_z
      - .offset:         196
        .size:           2
        .value_kind:     hidden_group_size_x
      - .offset:         198
        .size:           2
        .value_kind:     hidden_group_size_y
      - .offset:         200
        .size:           2
        .value_kind:     hidden_group_size_z
      - .offset:         202
        .size:           2
        .value_kind:     hidden_remainder_x
      - .offset:         204
        .size:           2
        .value_kind:     hidden_remainder_y
      - .offset:         206
        .size:           2
        .value_kind:     hidden_remainder_z
      - .offset:         224
        .size:           8
        .value_kind:     hidden_global_offset_x
      - .offset:         232
        .size:           8
        .value_kind:     hidden_global_offset_y
      - .offset:         240
        .size:           8
        .value_kind:     hidden_global_offset_z
      - .offset:         248
        .size:           2
        .value_kind:     hidden_grid_dims
    .group_segment_fixed_size: 0
    .kernarg_segment_align: 8
    .kernarg_segment_size: 440
    .language:       OpenCL C
    .language_version:
      - 2
      - 0
    .max_flat_workgroup_size: 1024
    .name:           _ZN2at6native12_GLOBAL__N_132conv_depthwise2d_backward_kernelILi0ELi2EfiEEvN5torch10headeronly6detail27GenericPackedTensorAccessorINS5_14TensorAccessorIN3c108ArrayRefIlEEKT1_Lm3ENS4_16DefaultPtrTraitsEiEENS_6detail16IndexBoundsCheckILm4EiEESC_Lm4ESD_iEENS6_INS7_ISA_SB_Lm3ESD_iEESH_SB_Lm4ESD_iEESI_T2_iiiiiiiiiiiiiii
    .private_segment_fixed_size: 0
    .sgpr_count:     58
    .sgpr_spill_count: 0
    .symbol:         _ZN2at6native12_GLOBAL__N_132conv_depthwise2d_backward_kernelILi0ELi2EfiEEvN5torch10headeronly6detail27GenericPackedTensorAccessorINS5_14TensorAccessorIN3c108ArrayRefIlEEKT1_Lm3ENS4_16DefaultPtrTraitsEiEENS_6detail16IndexBoundsCheckILm4EiEESC_Lm4ESD_iEENS6_INS7_ISA_SB_Lm3ESD_iEESH_SB_Lm4ESD_iEESI_T2_iiiiiiiiiiiiiii.kd
    .uniform_work_group_size: 1
    .uses_dynamic_stack: false
    .vgpr_count:     23
    .vgpr_spill_count: 0
    .wavefront_size: 64
  - .args:
      - .offset:         0
        .size:           40
        .value_kind:     by_value
      - .offset:         40
        .size:           40
        .value_kind:     by_value
      - .offset:         80
        .size:           40
        .value_kind:     by_value
      - .offset:         120
        .size:           4
        .value_kind:     by_value
      - .offset:         124
        .size:           4
        .value_kind:     by_value
      - .offset:         128
        .size:           4
        .value_kind:     by_value
      - .offset:         132
        .size:           4
        .value_kind:     by_value
      - .offset:         136
        .size:           4
        .value_kind:     by_value
      - .offset:         140
        .size:           4
        .value_kind:     by_value
      - .offset:         144
        .size:           4
        .value_kind:     by_value
      - .offset:         148
        .size:           4
        .value_kind:     by_value
      - .offset:         152
        .size:           4
        .value_kind:     by_value
      - .offset:         156
        .size:           4
        .value_kind:     by_value
      - .offset:         160
        .size:           4
        .value_kind:     by_value
      - .offset:         164
        .size:           4
        .value_kind:     by_value
      - .offset:         168
        .size:           4
        .value_kind:     by_value
      - .offset:         172
        .size:           4
        .value_kind:     by_value
      - .offset:         176
        .size:           4
        .value_kind:     by_value
      - .offset:         180
        .size:           4
        .value_kind:     by_value
      - .offset:         184
        .size:           4
        .value_kind:     hidden_block_count_x
      - .offset:         188
        .size:           4
        .value_kind:     hidden_block_count_y
      - .offset:         192
        .size:           4
        .value_kind:     hidden_block_count_z
      - .offset:         196
        .size:           2
        .value_kind:     hidden_group_size_x
      - .offset:         198
        .size:           2
        .value_kind:     hidden_group_size_y
      - .offset:         200
        .size:           2
        .value_kind:     hidden_group_size_z
      - .offset:         202
        .size:           2
        .value_kind:     hidden_remainder_x
      - .offset:         204
        .size:           2
        .value_kind:     hidden_remainder_y
      - .offset:         206
        .size:           2
        .value_kind:     hidden_remainder_z
      - .offset:         224
        .size:           8
        .value_kind:     hidden_global_offset_x
      - .offset:         232
        .size:           8
        .value_kind:     hidden_global_offset_y
      - .offset:         240
        .size:           8
        .value_kind:     hidden_global_offset_z
      - .offset:         248
        .size:           2
        .value_kind:     hidden_grid_dims
    .group_segment_fixed_size: 0
    .kernarg_segment_align: 8
    .kernarg_segment_size: 440
    .language:       OpenCL C
    .language_version:
      - 2
      - 0
    .max_flat_workgroup_size: 1024
    .name:           _ZN2at6native12_GLOBAL__N_132conv_depthwise2d_backward_kernelILi0ELi0EfiEEvN5torch10headeronly6detail27GenericPackedTensorAccessorINS5_14TensorAccessorIN3c108ArrayRefIlEEKT1_Lm3ENS4_16DefaultPtrTraitsEiEENS_6detail16IndexBoundsCheckILm4EiEESC_Lm4ESD_iEENS6_INS7_ISA_SB_Lm3ESD_iEESH_SB_Lm4ESD_iEESI_T2_iiiiiiiiiiiiiii
    .private_segment_fixed_size: 0
    .sgpr_count:     64
    .sgpr_spill_count: 0
    .symbol:         _ZN2at6native12_GLOBAL__N_132conv_depthwise2d_backward_kernelILi0ELi0EfiEEvN5torch10headeronly6detail27GenericPackedTensorAccessorINS5_14TensorAccessorIN3c108ArrayRefIlEEKT1_Lm3ENS4_16DefaultPtrTraitsEiEENS_6detail16IndexBoundsCheckILm4EiEESC_Lm4ESD_iEENS6_INS7_ISA_SB_Lm3ESD_iEESH_SB_Lm4ESD_iEESI_T2_iiiiiiiiiiiiiii.kd
    .uniform_work_group_size: 1
    .uses_dynamic_stack: false
    .vgpr_count:     26
    .vgpr_spill_count: 0
    .wavefront_size: 64
  - .args:
      - .offset:         0
        .size:           40
        .value_kind:     by_value
      - .offset:         40
        .size:           40
        .value_kind:     by_value
      - .offset:         80
        .size:           40
        .value_kind:     by_value
      - .offset:         120
        .size:           4
        .value_kind:     by_value
      - .offset:         124
        .size:           4
        .value_kind:     by_value
      - .offset:         128
        .size:           4
        .value_kind:     by_value
      - .offset:         132
        .size:           4
        .value_kind:     by_value
      - .offset:         136
        .size:           4
        .value_kind:     by_value
      - .offset:         140
        .size:           4
        .value_kind:     by_value
      - .offset:         144
        .size:           4
        .value_kind:     by_value
      - .offset:         148
        .size:           4
        .value_kind:     by_value
      - .offset:         152
        .size:           4
        .value_kind:     by_value
      - .offset:         156
        .size:           4
        .value_kind:     by_value
      - .offset:         160
        .size:           4
        .value_kind:     by_value
      - .offset:         164
        .size:           4
        .value_kind:     by_value
      - .offset:         168
        .size:           4
        .value_kind:     by_value
      - .offset:         172
        .size:           4
        .value_kind:     by_value
      - .offset:         176
        .size:           4
        .value_kind:     by_value
      - .offset:         180
        .size:           4
        .value_kind:     by_value
      - .offset:         184
        .size:           4
        .value_kind:     hidden_block_count_x
      - .offset:         188
        .size:           4
        .value_kind:     hidden_block_count_y
      - .offset:         192
        .size:           4
        .value_kind:     hidden_block_count_z
      - .offset:         196
        .size:           2
        .value_kind:     hidden_group_size_x
      - .offset:         198
        .size:           2
        .value_kind:     hidden_group_size_y
      - .offset:         200
        .size:           2
        .value_kind:     hidden_group_size_z
      - .offset:         202
        .size:           2
        .value_kind:     hidden_remainder_x
      - .offset:         204
        .size:           2
        .value_kind:     hidden_remainder_y
      - .offset:         206
        .size:           2
        .value_kind:     hidden_remainder_z
      - .offset:         224
        .size:           8
        .value_kind:     hidden_global_offset_x
      - .offset:         232
        .size:           8
        .value_kind:     hidden_global_offset_y
      - .offset:         240
        .size:           8
        .value_kind:     hidden_global_offset_z
      - .offset:         248
        .size:           2
        .value_kind:     hidden_grid_dims
    .group_segment_fixed_size: 0
    .kernarg_segment_align: 8
    .kernarg_segment_size: 440
    .language:       OpenCL C
    .language_version:
      - 2
      - 0
    .max_flat_workgroup_size: 1024
    .name:           _ZN2at6native12_GLOBAL__N_132conv_depthwise2d_backward_kernelILi5ELi1EN3c104HalfEiEEvN5torch10headeronly6detail27GenericPackedTensorAccessorINS7_14TensorAccessorINS3_8ArrayRefIlEEKT1_Lm3ENS6_16DefaultPtrTraitsEiEENS_6detail16IndexBoundsCheckILm4EiEESD_Lm4ESE_iEENS8_INS9_ISB_SC_Lm3ESE_iEESI_SC_Lm4ESE_iEESJ_T2_iiiiiiiiiiiiiii
    .private_segment_fixed_size: 0
    .sgpr_count:     100
    .sgpr_spill_count: 3
    .symbol:         _ZN2at6native12_GLOBAL__N_132conv_depthwise2d_backward_kernelILi5ELi1EN3c104HalfEiEEvN5torch10headeronly6detail27GenericPackedTensorAccessorINS7_14TensorAccessorINS3_8ArrayRefIlEEKT1_Lm3ENS6_16DefaultPtrTraitsEiEENS_6detail16IndexBoundsCheckILm4EiEESD_Lm4ESE_iEENS8_INS9_ISB_SC_Lm3ESE_iEESI_SC_Lm4ESE_iEESJ_T2_iiiiiiiiiiiiiii.kd
    .uniform_work_group_size: 1
    .uses_dynamic_stack: false
    .vgpr_count:     44
    .vgpr_spill_count: 0
    .wavefront_size: 64
  - .args:
      - .offset:         0
        .size:           40
        .value_kind:     by_value
      - .offset:         40
        .size:           40
        .value_kind:     by_value
      - .offset:         80
        .size:           40
        .value_kind:     by_value
      - .offset:         120
        .size:           4
        .value_kind:     by_value
      - .offset:         124
        .size:           4
        .value_kind:     by_value
      - .offset:         128
        .size:           4
        .value_kind:     by_value
      - .offset:         132
        .size:           4
        .value_kind:     by_value
      - .offset:         136
        .size:           4
        .value_kind:     by_value
      - .offset:         140
        .size:           4
        .value_kind:     by_value
      - .offset:         144
        .size:           4
        .value_kind:     by_value
      - .offset:         148
        .size:           4
        .value_kind:     by_value
      - .offset:         152
        .size:           4
        .value_kind:     by_value
      - .offset:         156
        .size:           4
        .value_kind:     by_value
      - .offset:         160
        .size:           4
        .value_kind:     by_value
      - .offset:         164
        .size:           4
        .value_kind:     by_value
      - .offset:         168
        .size:           4
        .value_kind:     by_value
      - .offset:         172
        .size:           4
        .value_kind:     by_value
      - .offset:         176
        .size:           4
        .value_kind:     by_value
      - .offset:         180
        .size:           4
        .value_kind:     by_value
      - .offset:         184
        .size:           4
        .value_kind:     hidden_block_count_x
      - .offset:         188
        .size:           4
        .value_kind:     hidden_block_count_y
      - .offset:         192
        .size:           4
        .value_kind:     hidden_block_count_z
      - .offset:         196
        .size:           2
        .value_kind:     hidden_group_size_x
      - .offset:         198
        .size:           2
        .value_kind:     hidden_group_size_y
      - .offset:         200
        .size:           2
        .value_kind:     hidden_group_size_z
      - .offset:         202
        .size:           2
        .value_kind:     hidden_remainder_x
      - .offset:         204
        .size:           2
        .value_kind:     hidden_remainder_y
      - .offset:         206
        .size:           2
        .value_kind:     hidden_remainder_z
      - .offset:         224
        .size:           8
        .value_kind:     hidden_global_offset_x
      - .offset:         232
        .size:           8
        .value_kind:     hidden_global_offset_y
      - .offset:         240
        .size:           8
        .value_kind:     hidden_global_offset_z
      - .offset:         248
        .size:           2
        .value_kind:     hidden_grid_dims
    .group_segment_fixed_size: 0
    .kernarg_segment_align: 8
    .kernarg_segment_size: 440
    .language:       OpenCL C
    .language_version:
      - 2
      - 0
    .max_flat_workgroup_size: 1024
    .name:           _ZN2at6native12_GLOBAL__N_132conv_depthwise2d_backward_kernelILi5ELi2EN3c104HalfEiEEvN5torch10headeronly6detail27GenericPackedTensorAccessorINS7_14TensorAccessorINS3_8ArrayRefIlEEKT1_Lm3ENS6_16DefaultPtrTraitsEiEENS_6detail16IndexBoundsCheckILm4EiEESD_Lm4ESE_iEENS8_INS9_ISB_SC_Lm3ESE_iEESI_SC_Lm4ESE_iEESJ_T2_iiiiiiiiiiiiiii
    .private_segment_fixed_size: 0
    .sgpr_count:     94
    .sgpr_spill_count: 0
    .symbol:         _ZN2at6native12_GLOBAL__N_132conv_depthwise2d_backward_kernelILi5ELi2EN3c104HalfEiEEvN5torch10headeronly6detail27GenericPackedTensorAccessorINS7_14TensorAccessorINS3_8ArrayRefIlEEKT1_Lm3ENS6_16DefaultPtrTraitsEiEENS_6detail16IndexBoundsCheckILm4EiEESD_Lm4ESE_iEENS8_INS9_ISB_SC_Lm3ESE_iEESI_SC_Lm4ESE_iEESJ_T2_iiiiiiiiiiiiiii.kd
    .uniform_work_group_size: 1
    .uses_dynamic_stack: false
    .vgpr_count:     37
    .vgpr_spill_count: 0
    .wavefront_size: 64
  - .args:
      - .offset:         0
        .size:           40
        .value_kind:     by_value
      - .offset:         40
        .size:           40
        .value_kind:     by_value
      - .offset:         80
        .size:           40
        .value_kind:     by_value
      - .offset:         120
        .size:           4
        .value_kind:     by_value
      - .offset:         124
        .size:           4
        .value_kind:     by_value
      - .offset:         128
        .size:           4
        .value_kind:     by_value
      - .offset:         132
        .size:           4
        .value_kind:     by_value
      - .offset:         136
        .size:           4
        .value_kind:     by_value
      - .offset:         140
        .size:           4
        .value_kind:     by_value
      - .offset:         144
        .size:           4
        .value_kind:     by_value
      - .offset:         148
        .size:           4
        .value_kind:     by_value
      - .offset:         152
        .size:           4
        .value_kind:     by_value
      - .offset:         156
        .size:           4
        .value_kind:     by_value
      - .offset:         160
        .size:           4
        .value_kind:     by_value
      - .offset:         164
        .size:           4
        .value_kind:     by_value
      - .offset:         168
        .size:           4
        .value_kind:     by_value
      - .offset:         172
        .size:           4
        .value_kind:     by_value
      - .offset:         176
        .size:           4
        .value_kind:     by_value
      - .offset:         180
        .size:           4
        .value_kind:     by_value
      - .offset:         184
        .size:           4
        .value_kind:     hidden_block_count_x
      - .offset:         188
        .size:           4
        .value_kind:     hidden_block_count_y
      - .offset:         192
        .size:           4
        .value_kind:     hidden_block_count_z
      - .offset:         196
        .size:           2
        .value_kind:     hidden_group_size_x
      - .offset:         198
        .size:           2
        .value_kind:     hidden_group_size_y
      - .offset:         200
        .size:           2
        .value_kind:     hidden_group_size_z
      - .offset:         202
        .size:           2
        .value_kind:     hidden_remainder_x
      - .offset:         204
        .size:           2
        .value_kind:     hidden_remainder_y
      - .offset:         206
        .size:           2
        .value_kind:     hidden_remainder_z
      - .offset:         224
        .size:           8
        .value_kind:     hidden_global_offset_x
      - .offset:         232
        .size:           8
        .value_kind:     hidden_global_offset_y
      - .offset:         240
        .size:           8
        .value_kind:     hidden_global_offset_z
      - .offset:         248
        .size:           2
        .value_kind:     hidden_grid_dims
    .group_segment_fixed_size: 0
    .kernarg_segment_align: 8
    .kernarg_segment_size: 440
    .language:       OpenCL C
    .language_version:
      - 2
      - 0
    .max_flat_workgroup_size: 1024
    .name:           _ZN2at6native12_GLOBAL__N_132conv_depthwise2d_backward_kernelILi5ELi0EN3c104HalfEiEEvN5torch10headeronly6detail27GenericPackedTensorAccessorINS7_14TensorAccessorINS3_8ArrayRefIlEEKT1_Lm3ENS6_16DefaultPtrTraitsEiEENS_6detail16IndexBoundsCheckILm4EiEESD_Lm4ESE_iEENS8_INS9_ISB_SC_Lm3ESE_iEESI_SC_Lm4ESE_iEESJ_T2_iiiiiiiiiiiiiii
    .private_segment_fixed_size: 0
    .sgpr_count:     100
    .sgpr_spill_count: 42
    .symbol:         _ZN2at6native12_GLOBAL__N_132conv_depthwise2d_backward_kernelILi5ELi0EN3c104HalfEiEEvN5torch10headeronly6detail27GenericPackedTensorAccessorINS7_14TensorAccessorINS3_8ArrayRefIlEEKT1_Lm3ENS6_16DefaultPtrTraitsEiEENS_6detail16IndexBoundsCheckILm4EiEESD_Lm4ESE_iEENS8_INS9_ISB_SC_Lm3ESE_iEESI_SC_Lm4ESE_iEESJ_T2_iiiiiiiiiiiiiii.kd
    .uniform_work_group_size: 1
    .uses_dynamic_stack: false
    .vgpr_count:     45
    .vgpr_spill_count: 0
    .wavefront_size: 64
  - .args:
      - .offset:         0
        .size:           40
        .value_kind:     by_value
      - .offset:         40
        .size:           40
        .value_kind:     by_value
      - .offset:         80
        .size:           40
        .value_kind:     by_value
      - .offset:         120
        .size:           4
        .value_kind:     by_value
      - .offset:         124
        .size:           4
        .value_kind:     by_value
      - .offset:         128
        .size:           4
        .value_kind:     by_value
      - .offset:         132
        .size:           4
        .value_kind:     by_value
      - .offset:         136
        .size:           4
        .value_kind:     by_value
      - .offset:         140
        .size:           4
        .value_kind:     by_value
      - .offset:         144
        .size:           4
        .value_kind:     by_value
      - .offset:         148
        .size:           4
        .value_kind:     by_value
      - .offset:         152
        .size:           4
        .value_kind:     by_value
      - .offset:         156
        .size:           4
        .value_kind:     by_value
      - .offset:         160
        .size:           4
        .value_kind:     by_value
      - .offset:         164
        .size:           4
        .value_kind:     by_value
      - .offset:         168
        .size:           4
        .value_kind:     by_value
      - .offset:         172
        .size:           4
        .value_kind:     by_value
      - .offset:         176
        .size:           4
        .value_kind:     by_value
      - .offset:         180
        .size:           4
        .value_kind:     by_value
      - .offset:         184
        .size:           4
        .value_kind:     hidden_block_count_x
      - .offset:         188
        .size:           4
        .value_kind:     hidden_block_count_y
      - .offset:         192
        .size:           4
        .value_kind:     hidden_block_count_z
      - .offset:         196
        .size:           2
        .value_kind:     hidden_group_size_x
      - .offset:         198
        .size:           2
        .value_kind:     hidden_group_size_y
      - .offset:         200
        .size:           2
        .value_kind:     hidden_group_size_z
      - .offset:         202
        .size:           2
        .value_kind:     hidden_remainder_x
      - .offset:         204
        .size:           2
        .value_kind:     hidden_remainder_y
      - .offset:         206
        .size:           2
        .value_kind:     hidden_remainder_z
      - .offset:         224
        .size:           8
        .value_kind:     hidden_global_offset_x
      - .offset:         232
        .size:           8
        .value_kind:     hidden_global_offset_y
      - .offset:         240
        .size:           8
        .value_kind:     hidden_global_offset_z
      - .offset:         248
        .size:           2
        .value_kind:     hidden_grid_dims
    .group_segment_fixed_size: 0
    .kernarg_segment_align: 8
    .kernarg_segment_size: 440
    .language:       OpenCL C
    .language_version:
      - 2
      - 0
    .max_flat_workgroup_size: 1024
    .name:           _ZN2at6native12_GLOBAL__N_132conv_depthwise2d_backward_kernelILi3ELi1EN3c104HalfEiEEvN5torch10headeronly6detail27GenericPackedTensorAccessorINS7_14TensorAccessorINS3_8ArrayRefIlEEKT1_Lm3ENS6_16DefaultPtrTraitsEiEENS_6detail16IndexBoundsCheckILm4EiEESD_Lm4ESE_iEENS8_INS9_ISB_SC_Lm3ESE_iEESI_SC_Lm4ESE_iEESJ_T2_iiiiiiiiiiiiiii
    .private_segment_fixed_size: 0
    .sgpr_count:     72
    .sgpr_spill_count: 0
    .symbol:         _ZN2at6native12_GLOBAL__N_132conv_depthwise2d_backward_kernelILi3ELi1EN3c104HalfEiEEvN5torch10headeronly6detail27GenericPackedTensorAccessorINS7_14TensorAccessorINS3_8ArrayRefIlEEKT1_Lm3ENS6_16DefaultPtrTraitsEiEENS_6detail16IndexBoundsCheckILm4EiEESD_Lm4ESE_iEENS8_INS9_ISB_SC_Lm3ESE_iEESI_SC_Lm4ESE_iEESJ_T2_iiiiiiiiiiiiiii.kd
    .uniform_work_group_size: 1
    .uses_dynamic_stack: false
    .vgpr_count:     25
    .vgpr_spill_count: 0
    .wavefront_size: 64
  - .args:
      - .offset:         0
        .size:           40
        .value_kind:     by_value
      - .offset:         40
        .size:           40
        .value_kind:     by_value
      - .offset:         80
        .size:           40
        .value_kind:     by_value
      - .offset:         120
        .size:           4
        .value_kind:     by_value
      - .offset:         124
        .size:           4
        .value_kind:     by_value
      - .offset:         128
        .size:           4
        .value_kind:     by_value
      - .offset:         132
        .size:           4
        .value_kind:     by_value
      - .offset:         136
        .size:           4
        .value_kind:     by_value
      - .offset:         140
        .size:           4
        .value_kind:     by_value
      - .offset:         144
        .size:           4
        .value_kind:     by_value
      - .offset:         148
        .size:           4
        .value_kind:     by_value
      - .offset:         152
        .size:           4
        .value_kind:     by_value
      - .offset:         156
        .size:           4
        .value_kind:     by_value
      - .offset:         160
        .size:           4
        .value_kind:     by_value
      - .offset:         164
        .size:           4
        .value_kind:     by_value
      - .offset:         168
        .size:           4
        .value_kind:     by_value
      - .offset:         172
        .size:           4
        .value_kind:     by_value
      - .offset:         176
        .size:           4
        .value_kind:     by_value
      - .offset:         180
        .size:           4
        .value_kind:     by_value
      - .offset:         184
        .size:           4
        .value_kind:     hidden_block_count_x
      - .offset:         188
        .size:           4
        .value_kind:     hidden_block_count_y
      - .offset:         192
        .size:           4
        .value_kind:     hidden_block_count_z
      - .offset:         196
        .size:           2
        .value_kind:     hidden_group_size_x
      - .offset:         198
        .size:           2
        .value_kind:     hidden_group_size_y
      - .offset:         200
        .size:           2
        .value_kind:     hidden_group_size_z
      - .offset:         202
        .size:           2
        .value_kind:     hidden_remainder_x
      - .offset:         204
        .size:           2
        .value_kind:     hidden_remainder_y
      - .offset:         206
        .size:           2
        .value_kind:     hidden_remainder_z
      - .offset:         224
        .size:           8
        .value_kind:     hidden_global_offset_x
      - .offset:         232
        .size:           8
        .value_kind:     hidden_global_offset_y
      - .offset:         240
        .size:           8
        .value_kind:     hidden_global_offset_z
      - .offset:         248
        .size:           2
        .value_kind:     hidden_grid_dims
    .group_segment_fixed_size: 0
    .kernarg_segment_align: 8
    .kernarg_segment_size: 440
    .language:       OpenCL C
    .language_version:
      - 2
      - 0
    .max_flat_workgroup_size: 1024
    .name:           _ZN2at6native12_GLOBAL__N_132conv_depthwise2d_backward_kernelILi3ELi2EN3c104HalfEiEEvN5torch10headeronly6detail27GenericPackedTensorAccessorINS7_14TensorAccessorINS3_8ArrayRefIlEEKT1_Lm3ENS6_16DefaultPtrTraitsEiEENS_6detail16IndexBoundsCheckILm4EiEESD_Lm4ESE_iEENS8_INS9_ISB_SC_Lm3ESE_iEESI_SC_Lm4ESE_iEESJ_T2_iiiiiiiiiiiiiii
    .private_segment_fixed_size: 0
    .sgpr_count:     80
    .sgpr_spill_count: 0
    .symbol:         _ZN2at6native12_GLOBAL__N_132conv_depthwise2d_backward_kernelILi3ELi2EN3c104HalfEiEEvN5torch10headeronly6detail27GenericPackedTensorAccessorINS7_14TensorAccessorINS3_8ArrayRefIlEEKT1_Lm3ENS6_16DefaultPtrTraitsEiEENS_6detail16IndexBoundsCheckILm4EiEESD_Lm4ESE_iEENS8_INS9_ISB_SC_Lm3ESE_iEESI_SC_Lm4ESE_iEESJ_T2_iiiiiiiiiiiiiii.kd
    .uniform_work_group_size: 1
    .uses_dynamic_stack: false
    .vgpr_count:     21
    .vgpr_spill_count: 0
    .wavefront_size: 64
  - .args:
      - .offset:         0
        .size:           40
        .value_kind:     by_value
      - .offset:         40
        .size:           40
        .value_kind:     by_value
      - .offset:         80
        .size:           40
        .value_kind:     by_value
      - .offset:         120
        .size:           4
        .value_kind:     by_value
      - .offset:         124
        .size:           4
        .value_kind:     by_value
      - .offset:         128
        .size:           4
        .value_kind:     by_value
      - .offset:         132
        .size:           4
        .value_kind:     by_value
      - .offset:         136
        .size:           4
        .value_kind:     by_value
      - .offset:         140
        .size:           4
        .value_kind:     by_value
      - .offset:         144
        .size:           4
        .value_kind:     by_value
      - .offset:         148
        .size:           4
        .value_kind:     by_value
      - .offset:         152
        .size:           4
        .value_kind:     by_value
      - .offset:         156
        .size:           4
        .value_kind:     by_value
      - .offset:         160
        .size:           4
        .value_kind:     by_value
      - .offset:         164
        .size:           4
        .value_kind:     by_value
      - .offset:         168
        .size:           4
        .value_kind:     by_value
      - .offset:         172
        .size:           4
        .value_kind:     by_value
      - .offset:         176
        .size:           4
        .value_kind:     by_value
      - .offset:         180
        .size:           4
        .value_kind:     by_value
      - .offset:         184
        .size:           4
        .value_kind:     hidden_block_count_x
      - .offset:         188
        .size:           4
        .value_kind:     hidden_block_count_y
      - .offset:         192
        .size:           4
        .value_kind:     hidden_block_count_z
      - .offset:         196
        .size:           2
        .value_kind:     hidden_group_size_x
      - .offset:         198
        .size:           2
        .value_kind:     hidden_group_size_y
      - .offset:         200
        .size:           2
        .value_kind:     hidden_group_size_z
      - .offset:         202
        .size:           2
        .value_kind:     hidden_remainder_x
      - .offset:         204
        .size:           2
        .value_kind:     hidden_remainder_y
      - .offset:         206
        .size:           2
        .value_kind:     hidden_remainder_z
      - .offset:         224
        .size:           8
        .value_kind:     hidden_global_offset_x
      - .offset:         232
        .size:           8
        .value_kind:     hidden_global_offset_y
      - .offset:         240
        .size:           8
        .value_kind:     hidden_global_offset_z
      - .offset:         248
        .size:           2
        .value_kind:     hidden_grid_dims
    .group_segment_fixed_size: 0
    .kernarg_segment_align: 8
    .kernarg_segment_size: 440
    .language:       OpenCL C
    .language_version:
      - 2
      - 0
    .max_flat_workgroup_size: 1024
    .name:           _ZN2at6native12_GLOBAL__N_132conv_depthwise2d_backward_kernelILi3ELi0EN3c104HalfEiEEvN5torch10headeronly6detail27GenericPackedTensorAccessorINS7_14TensorAccessorINS3_8ArrayRefIlEEKT1_Lm3ENS6_16DefaultPtrTraitsEiEENS_6detail16IndexBoundsCheckILm4EiEESD_Lm4ESE_iEENS8_INS9_ISB_SC_Lm3ESE_iEESI_SC_Lm4ESE_iEESJ_T2_iiiiiiiiiiiiiii
    .private_segment_fixed_size: 0
    .sgpr_count:     96
    .sgpr_spill_count: 0
    .symbol:         _ZN2at6native12_GLOBAL__N_132conv_depthwise2d_backward_kernelILi3ELi0EN3c104HalfEiEEvN5torch10headeronly6detail27GenericPackedTensorAccessorINS7_14TensorAccessorINS3_8ArrayRefIlEEKT1_Lm3ENS6_16DefaultPtrTraitsEiEENS_6detail16IndexBoundsCheckILm4EiEESD_Lm4ESE_iEENS8_INS9_ISB_SC_Lm3ESE_iEESI_SC_Lm4ESE_iEESJ_T2_iiiiiiiiiiiiiii.kd
    .uniform_work_group_size: 1
    .uses_dynamic_stack: false
    .vgpr_count:     29
    .vgpr_spill_count: 0
    .wavefront_size: 64
  - .args:
      - .offset:         0
        .size:           40
        .value_kind:     by_value
      - .offset:         40
        .size:           40
        .value_kind:     by_value
      - .offset:         80
        .size:           40
        .value_kind:     by_value
      - .offset:         120
        .size:           4
        .value_kind:     by_value
      - .offset:         124
        .size:           4
        .value_kind:     by_value
      - .offset:         128
        .size:           4
        .value_kind:     by_value
      - .offset:         132
        .size:           4
        .value_kind:     by_value
      - .offset:         136
        .size:           4
        .value_kind:     by_value
      - .offset:         140
        .size:           4
        .value_kind:     by_value
      - .offset:         144
        .size:           4
        .value_kind:     by_value
      - .offset:         148
        .size:           4
        .value_kind:     by_value
      - .offset:         152
        .size:           4
        .value_kind:     by_value
      - .offset:         156
        .size:           4
        .value_kind:     by_value
      - .offset:         160
        .size:           4
        .value_kind:     by_value
      - .offset:         164
        .size:           4
        .value_kind:     by_value
      - .offset:         168
        .size:           4
        .value_kind:     by_value
      - .offset:         172
        .size:           4
        .value_kind:     by_value
      - .offset:         176
        .size:           4
        .value_kind:     by_value
      - .offset:         180
        .size:           4
        .value_kind:     by_value
      - .offset:         184
        .size:           4
        .value_kind:     hidden_block_count_x
      - .offset:         188
        .size:           4
        .value_kind:     hidden_block_count_y
      - .offset:         192
        .size:           4
        .value_kind:     hidden_block_count_z
      - .offset:         196
        .size:           2
        .value_kind:     hidden_group_size_x
      - .offset:         198
        .size:           2
        .value_kind:     hidden_group_size_y
      - .offset:         200
        .size:           2
        .value_kind:     hidden_group_size_z
      - .offset:         202
        .size:           2
        .value_kind:     hidden_remainder_x
      - .offset:         204
        .size:           2
        .value_kind:     hidden_remainder_y
      - .offset:         206
        .size:           2
        .value_kind:     hidden_remainder_z
      - .offset:         224
        .size:           8
        .value_kind:     hidden_global_offset_x
      - .offset:         232
        .size:           8
        .value_kind:     hidden_global_offset_y
      - .offset:         240
        .size:           8
        .value_kind:     hidden_global_offset_z
      - .offset:         248
        .size:           2
        .value_kind:     hidden_grid_dims
    .group_segment_fixed_size: 0
    .kernarg_segment_align: 8
    .kernarg_segment_size: 440
    .language:       OpenCL C
    .language_version:
      - 2
      - 0
    .max_flat_workgroup_size: 1024
    .name:           _ZN2at6native12_GLOBAL__N_132conv_depthwise2d_backward_kernelILi1ELi1EN3c104HalfEiEEvN5torch10headeronly6detail27GenericPackedTensorAccessorINS7_14TensorAccessorINS3_8ArrayRefIlEEKT1_Lm3ENS6_16DefaultPtrTraitsEiEENS_6detail16IndexBoundsCheckILm4EiEESD_Lm4ESE_iEENS8_INS9_ISB_SC_Lm3ESE_iEESI_SC_Lm4ESE_iEESJ_T2_iiiiiiiiiiiiiii
    .private_segment_fixed_size: 0
    .sgpr_count:     44
    .sgpr_spill_count: 0
    .symbol:         _ZN2at6native12_GLOBAL__N_132conv_depthwise2d_backward_kernelILi1ELi1EN3c104HalfEiEEvN5torch10headeronly6detail27GenericPackedTensorAccessorINS7_14TensorAccessorINS3_8ArrayRefIlEEKT1_Lm3ENS6_16DefaultPtrTraitsEiEENS_6detail16IndexBoundsCheckILm4EiEESD_Lm4ESE_iEENS8_INS9_ISB_SC_Lm3ESE_iEESI_SC_Lm4ESE_iEESJ_T2_iiiiiiiiiiiiiii.kd
    .uniform_work_group_size: 1
    .uses_dynamic_stack: false
    .vgpr_count:     15
    .vgpr_spill_count: 0
    .wavefront_size: 64
  - .args:
      - .offset:         0
        .size:           40
        .value_kind:     by_value
      - .offset:         40
        .size:           40
        .value_kind:     by_value
      - .offset:         80
        .size:           40
        .value_kind:     by_value
      - .offset:         120
        .size:           4
        .value_kind:     by_value
      - .offset:         124
        .size:           4
        .value_kind:     by_value
      - .offset:         128
        .size:           4
        .value_kind:     by_value
      - .offset:         132
        .size:           4
        .value_kind:     by_value
      - .offset:         136
        .size:           4
        .value_kind:     by_value
      - .offset:         140
        .size:           4
        .value_kind:     by_value
      - .offset:         144
        .size:           4
        .value_kind:     by_value
      - .offset:         148
        .size:           4
        .value_kind:     by_value
      - .offset:         152
        .size:           4
        .value_kind:     by_value
      - .offset:         156
        .size:           4
        .value_kind:     by_value
      - .offset:         160
        .size:           4
        .value_kind:     by_value
      - .offset:         164
        .size:           4
        .value_kind:     by_value
      - .offset:         168
        .size:           4
        .value_kind:     by_value
      - .offset:         172
        .size:           4
        .value_kind:     by_value
      - .offset:         176
        .size:           4
        .value_kind:     by_value
      - .offset:         180
        .size:           4
        .value_kind:     by_value
      - .offset:         184
        .size:           4
        .value_kind:     hidden_block_count_x
      - .offset:         188
        .size:           4
        .value_kind:     hidden_block_count_y
      - .offset:         192
        .size:           4
        .value_kind:     hidden_block_count_z
      - .offset:         196
        .size:           2
        .value_kind:     hidden_group_size_x
      - .offset:         198
        .size:           2
        .value_kind:     hidden_group_size_y
      - .offset:         200
        .size:           2
        .value_kind:     hidden_group_size_z
      - .offset:         202
        .size:           2
        .value_kind:     hidden_remainder_x
      - .offset:         204
        .size:           2
        .value_kind:     hidden_remainder_y
      - .offset:         206
        .size:           2
        .value_kind:     hidden_remainder_z
      - .offset:         224
        .size:           8
        .value_kind:     hidden_global_offset_x
      - .offset:         232
        .size:           8
        .value_kind:     hidden_global_offset_y
      - .offset:         240
        .size:           8
        .value_kind:     hidden_global_offset_z
      - .offset:         248
        .size:           2
        .value_kind:     hidden_grid_dims
    .group_segment_fixed_size: 0
    .kernarg_segment_align: 8
    .kernarg_segment_size: 440
    .language:       OpenCL C
    .language_version:
      - 2
      - 0
    .max_flat_workgroup_size: 1024
    .name:           _ZN2at6native12_GLOBAL__N_132conv_depthwise2d_backward_kernelILi1ELi2EN3c104HalfEiEEvN5torch10headeronly6detail27GenericPackedTensorAccessorINS7_14TensorAccessorINS3_8ArrayRefIlEEKT1_Lm3ENS6_16DefaultPtrTraitsEiEENS_6detail16IndexBoundsCheckILm4EiEESD_Lm4ESE_iEENS8_INS9_ISB_SC_Lm3ESE_iEESI_SC_Lm4ESE_iEESJ_T2_iiiiiiiiiiiiiii
    .private_segment_fixed_size: 0
    .sgpr_count:     46
    .sgpr_spill_count: 0
    .symbol:         _ZN2at6native12_GLOBAL__N_132conv_depthwise2d_backward_kernelILi1ELi2EN3c104HalfEiEEvN5torch10headeronly6detail27GenericPackedTensorAccessorINS7_14TensorAccessorINS3_8ArrayRefIlEEKT1_Lm3ENS6_16DefaultPtrTraitsEiEENS_6detail16IndexBoundsCheckILm4EiEESD_Lm4ESE_iEENS8_INS9_ISB_SC_Lm3ESE_iEESI_SC_Lm4ESE_iEESJ_T2_iiiiiiiiiiiiiii.kd
    .uniform_work_group_size: 1
    .uses_dynamic_stack: false
    .vgpr_count:     14
    .vgpr_spill_count: 0
    .wavefront_size: 64
  - .args:
      - .offset:         0
        .size:           40
        .value_kind:     by_value
      - .offset:         40
        .size:           40
        .value_kind:     by_value
      - .offset:         80
        .size:           40
        .value_kind:     by_value
      - .offset:         120
        .size:           4
        .value_kind:     by_value
      - .offset:         124
        .size:           4
        .value_kind:     by_value
      - .offset:         128
        .size:           4
        .value_kind:     by_value
      - .offset:         132
        .size:           4
        .value_kind:     by_value
      - .offset:         136
        .size:           4
        .value_kind:     by_value
      - .offset:         140
        .size:           4
        .value_kind:     by_value
      - .offset:         144
        .size:           4
        .value_kind:     by_value
      - .offset:         148
        .size:           4
        .value_kind:     by_value
      - .offset:         152
        .size:           4
        .value_kind:     by_value
      - .offset:         156
        .size:           4
        .value_kind:     by_value
      - .offset:         160
        .size:           4
        .value_kind:     by_value
      - .offset:         164
        .size:           4
        .value_kind:     by_value
      - .offset:         168
        .size:           4
        .value_kind:     by_value
      - .offset:         172
        .size:           4
        .value_kind:     by_value
      - .offset:         176
        .size:           4
        .value_kind:     by_value
      - .offset:         180
        .size:           4
        .value_kind:     by_value
      - .offset:         184
        .size:           4
        .value_kind:     hidden_block_count_x
      - .offset:         188
        .size:           4
        .value_kind:     hidden_block_count_y
      - .offset:         192
        .size:           4
        .value_kind:     hidden_block_count_z
      - .offset:         196
        .size:           2
        .value_kind:     hidden_group_size_x
      - .offset:         198
        .size:           2
        .value_kind:     hidden_group_size_y
      - .offset:         200
        .size:           2
        .value_kind:     hidden_group_size_z
      - .offset:         202
        .size:           2
        .value_kind:     hidden_remainder_x
      - .offset:         204
        .size:           2
        .value_kind:     hidden_remainder_y
      - .offset:         206
        .size:           2
        .value_kind:     hidden_remainder_z
      - .offset:         224
        .size:           8
        .value_kind:     hidden_global_offset_x
      - .offset:         232
        .size:           8
        .value_kind:     hidden_global_offset_y
      - .offset:         240
        .size:           8
        .value_kind:     hidden_global_offset_z
      - .offset:         248
        .size:           2
        .value_kind:     hidden_grid_dims
    .group_segment_fixed_size: 0
    .kernarg_segment_align: 8
    .kernarg_segment_size: 440
    .language:       OpenCL C
    .language_version:
      - 2
      - 0
    .max_flat_workgroup_size: 1024
    .name:           _ZN2at6native12_GLOBAL__N_132conv_depthwise2d_backward_kernelILi1ELi0EN3c104HalfEiEEvN5torch10headeronly6detail27GenericPackedTensorAccessorINS7_14TensorAccessorINS3_8ArrayRefIlEEKT1_Lm3ENS6_16DefaultPtrTraitsEiEENS_6detail16IndexBoundsCheckILm4EiEESD_Lm4ESE_iEENS8_INS9_ISB_SC_Lm3ESE_iEESI_SC_Lm4ESE_iEESJ_T2_iiiiiiiiiiiiiii
    .private_segment_fixed_size: 0
    .sgpr_count:     55
    .sgpr_spill_count: 0
    .symbol:         _ZN2at6native12_GLOBAL__N_132conv_depthwise2d_backward_kernelILi1ELi0EN3c104HalfEiEEvN5torch10headeronly6detail27GenericPackedTensorAccessorINS7_14TensorAccessorINS3_8ArrayRefIlEEKT1_Lm3ENS6_16DefaultPtrTraitsEiEENS_6detail16IndexBoundsCheckILm4EiEESD_Lm4ESE_iEENS8_INS9_ISB_SC_Lm3ESE_iEESI_SC_Lm4ESE_iEESJ_T2_iiiiiiiiiiiiiii.kd
    .uniform_work_group_size: 1
    .uses_dynamic_stack: false
    .vgpr_count:     18
    .vgpr_spill_count: 0
    .wavefront_size: 64
  - .args:
      - .offset:         0
        .size:           40
        .value_kind:     by_value
      - .offset:         40
        .size:           40
        .value_kind:     by_value
      - .offset:         80
        .size:           40
        .value_kind:     by_value
      - .offset:         120
        .size:           4
        .value_kind:     by_value
      - .offset:         124
        .size:           4
        .value_kind:     by_value
      - .offset:         128
        .size:           4
        .value_kind:     by_value
      - .offset:         132
        .size:           4
        .value_kind:     by_value
      - .offset:         136
        .size:           4
        .value_kind:     by_value
      - .offset:         140
        .size:           4
        .value_kind:     by_value
      - .offset:         144
        .size:           4
        .value_kind:     by_value
      - .offset:         148
        .size:           4
        .value_kind:     by_value
      - .offset:         152
        .size:           4
        .value_kind:     by_value
      - .offset:         156
        .size:           4
        .value_kind:     by_value
      - .offset:         160
        .size:           4
        .value_kind:     by_value
      - .offset:         164
        .size:           4
        .value_kind:     by_value
      - .offset:         168
        .size:           4
        .value_kind:     by_value
      - .offset:         172
        .size:           4
        .value_kind:     by_value
      - .offset:         176
        .size:           4
        .value_kind:     by_value
      - .offset:         180
        .size:           4
        .value_kind:     by_value
      - .offset:         184
        .size:           4
        .value_kind:     hidden_block_count_x
      - .offset:         188
        .size:           4
        .value_kind:     hidden_block_count_y
      - .offset:         192
        .size:           4
        .value_kind:     hidden_block_count_z
      - .offset:         196
        .size:           2
        .value_kind:     hidden_group_size_x
      - .offset:         198
        .size:           2
        .value_kind:     hidden_group_size_y
      - .offset:         200
        .size:           2
        .value_kind:     hidden_group_size_z
      - .offset:         202
        .size:           2
        .value_kind:     hidden_remainder_x
      - .offset:         204
        .size:           2
        .value_kind:     hidden_remainder_y
      - .offset:         206
        .size:           2
        .value_kind:     hidden_remainder_z
      - .offset:         224
        .size:           8
        .value_kind:     hidden_global_offset_x
      - .offset:         232
        .size:           8
        .value_kind:     hidden_global_offset_y
      - .offset:         240
        .size:           8
        .value_kind:     hidden_global_offset_z
      - .offset:         248
        .size:           2
        .value_kind:     hidden_grid_dims
    .group_segment_fixed_size: 0
    .kernarg_segment_align: 8
    .kernarg_segment_size: 440
    .language:       OpenCL C
    .language_version:
      - 2
      - 0
    .max_flat_workgroup_size: 1024
    .name:           _ZN2at6native12_GLOBAL__N_132conv_depthwise2d_backward_kernelILi0ELi1EN3c104HalfEiEEvN5torch10headeronly6detail27GenericPackedTensorAccessorINS7_14TensorAccessorINS3_8ArrayRefIlEEKT1_Lm3ENS6_16DefaultPtrTraitsEiEENS_6detail16IndexBoundsCheckILm4EiEESD_Lm4ESE_iEENS8_INS9_ISB_SC_Lm3ESE_iEESI_SC_Lm4ESE_iEESJ_T2_iiiiiiiiiiiiiii
    .private_segment_fixed_size: 0
    .sgpr_count:     56
    .sgpr_spill_count: 0
    .symbol:         _ZN2at6native12_GLOBAL__N_132conv_depthwise2d_backward_kernelILi0ELi1EN3c104HalfEiEEvN5torch10headeronly6detail27GenericPackedTensorAccessorINS7_14TensorAccessorINS3_8ArrayRefIlEEKT1_Lm3ENS6_16DefaultPtrTraitsEiEENS_6detail16IndexBoundsCheckILm4EiEESD_Lm4ESE_iEENS8_INS9_ISB_SC_Lm3ESE_iEESI_SC_Lm4ESE_iEESJ_T2_iiiiiiiiiiiiiii.kd
    .uniform_work_group_size: 1
    .uses_dynamic_stack: false
    .vgpr_count:     21
    .vgpr_spill_count: 0
    .wavefront_size: 64
  - .args:
      - .offset:         0
        .size:           40
        .value_kind:     by_value
      - .offset:         40
        .size:           40
        .value_kind:     by_value
      - .offset:         80
        .size:           40
        .value_kind:     by_value
      - .offset:         120
        .size:           4
        .value_kind:     by_value
      - .offset:         124
        .size:           4
        .value_kind:     by_value
      - .offset:         128
        .size:           4
        .value_kind:     by_value
      - .offset:         132
        .size:           4
        .value_kind:     by_value
      - .offset:         136
        .size:           4
        .value_kind:     by_value
      - .offset:         140
        .size:           4
        .value_kind:     by_value
      - .offset:         144
        .size:           4
        .value_kind:     by_value
      - .offset:         148
        .size:           4
        .value_kind:     by_value
      - .offset:         152
        .size:           4
        .value_kind:     by_value
      - .offset:         156
        .size:           4
        .value_kind:     by_value
      - .offset:         160
        .size:           4
        .value_kind:     by_value
      - .offset:         164
        .size:           4
        .value_kind:     by_value
      - .offset:         168
        .size:           4
        .value_kind:     by_value
      - .offset:         172
        .size:           4
        .value_kind:     by_value
      - .offset:         176
        .size:           4
        .value_kind:     by_value
      - .offset:         180
        .size:           4
        .value_kind:     by_value
      - .offset:         184
        .size:           4
        .value_kind:     hidden_block_count_x
      - .offset:         188
        .size:           4
        .value_kind:     hidden_block_count_y
      - .offset:         192
        .size:           4
        .value_kind:     hidden_block_count_z
      - .offset:         196
        .size:           2
        .value_kind:     hidden_group_size_x
      - .offset:         198
        .size:           2
        .value_kind:     hidden_group_size_y
      - .offset:         200
        .size:           2
        .value_kind:     hidden_group_size_z
      - .offset:         202
        .size:           2
        .value_kind:     hidden_remainder_x
      - .offset:         204
        .size:           2
        .value_kind:     hidden_remainder_y
      - .offset:         206
        .size:           2
        .value_kind:     hidden_remainder_z
      - .offset:         224
        .size:           8
        .value_kind:     hidden_global_offset_x
      - .offset:         232
        .size:           8
        .value_kind:     hidden_global_offset_y
      - .offset:         240
        .size:           8
        .value_kind:     hidden_global_offset_z
      - .offset:         248
        .size:           2
        .value_kind:     hidden_grid_dims
    .group_segment_fixed_size: 0
    .kernarg_segment_align: 8
    .kernarg_segment_size: 440
    .language:       OpenCL C
    .language_version:
      - 2
      - 0
    .max_flat_workgroup_size: 1024
    .name:           _ZN2at6native12_GLOBAL__N_132conv_depthwise2d_backward_kernelILi0ELi2EN3c104HalfEiEEvN5torch10headeronly6detail27GenericPackedTensorAccessorINS7_14TensorAccessorINS3_8ArrayRefIlEEKT1_Lm3ENS6_16DefaultPtrTraitsEiEENS_6detail16IndexBoundsCheckILm4EiEESD_Lm4ESE_iEENS8_INS9_ISB_SC_Lm3ESE_iEESI_SC_Lm4ESE_iEESJ_T2_iiiiiiiiiiiiiii
    .private_segment_fixed_size: 0
    .sgpr_count:     58
    .sgpr_spill_count: 0
    .symbol:         _ZN2at6native12_GLOBAL__N_132conv_depthwise2d_backward_kernelILi0ELi2EN3c104HalfEiEEvN5torch10headeronly6detail27GenericPackedTensorAccessorINS7_14TensorAccessorINS3_8ArrayRefIlEEKT1_Lm3ENS6_16DefaultPtrTraitsEiEENS_6detail16IndexBoundsCheckILm4EiEESD_Lm4ESE_iEENS8_INS9_ISB_SC_Lm3ESE_iEESI_SC_Lm4ESE_iEESJ_T2_iiiiiiiiiiiiiii.kd
    .uniform_work_group_size: 1
    .uses_dynamic_stack: false
    .vgpr_count:     23
    .vgpr_spill_count: 0
    .wavefront_size: 64
  - .args:
      - .offset:         0
        .size:           40
        .value_kind:     by_value
      - .offset:         40
        .size:           40
        .value_kind:     by_value
      - .offset:         80
        .size:           40
        .value_kind:     by_value
      - .offset:         120
        .size:           4
        .value_kind:     by_value
      - .offset:         124
        .size:           4
        .value_kind:     by_value
      - .offset:         128
        .size:           4
        .value_kind:     by_value
      - .offset:         132
        .size:           4
        .value_kind:     by_value
      - .offset:         136
        .size:           4
        .value_kind:     by_value
      - .offset:         140
        .size:           4
        .value_kind:     by_value
      - .offset:         144
        .size:           4
        .value_kind:     by_value
      - .offset:         148
        .size:           4
        .value_kind:     by_value
      - .offset:         152
        .size:           4
        .value_kind:     by_value
      - .offset:         156
        .size:           4
        .value_kind:     by_value
      - .offset:         160
        .size:           4
        .value_kind:     by_value
      - .offset:         164
        .size:           4
        .value_kind:     by_value
      - .offset:         168
        .size:           4
        .value_kind:     by_value
      - .offset:         172
        .size:           4
        .value_kind:     by_value
      - .offset:         176
        .size:           4
        .value_kind:     by_value
      - .offset:         180
        .size:           4
        .value_kind:     by_value
      - .offset:         184
        .size:           4
        .value_kind:     hidden_block_count_x
      - .offset:         188
        .size:           4
        .value_kind:     hidden_block_count_y
      - .offset:         192
        .size:           4
        .value_kind:     hidden_block_count_z
      - .offset:         196
        .size:           2
        .value_kind:     hidden_group_size_x
      - .offset:         198
        .size:           2
        .value_kind:     hidden_group_size_y
      - .offset:         200
        .size:           2
        .value_kind:     hidden_group_size_z
      - .offset:         202
        .size:           2
        .value_kind:     hidden_remainder_x
      - .offset:         204
        .size:           2
        .value_kind:     hidden_remainder_y
      - .offset:         206
        .size:           2
        .value_kind:     hidden_remainder_z
      - .offset:         224
        .size:           8
        .value_kind:     hidden_global_offset_x
      - .offset:         232
        .size:           8
        .value_kind:     hidden_global_offset_y
      - .offset:         240
        .size:           8
        .value_kind:     hidden_global_offset_z
      - .offset:         248
        .size:           2
        .value_kind:     hidden_grid_dims
    .group_segment_fixed_size: 0
    .kernarg_segment_align: 8
    .kernarg_segment_size: 440
    .language:       OpenCL C
    .language_version:
      - 2
      - 0
    .max_flat_workgroup_size: 1024
    .name:           _ZN2at6native12_GLOBAL__N_132conv_depthwise2d_backward_kernelILi0ELi0EN3c104HalfEiEEvN5torch10headeronly6detail27GenericPackedTensorAccessorINS7_14TensorAccessorINS3_8ArrayRefIlEEKT1_Lm3ENS6_16DefaultPtrTraitsEiEENS_6detail16IndexBoundsCheckILm4EiEESD_Lm4ESE_iEENS8_INS9_ISB_SC_Lm3ESE_iEESI_SC_Lm4ESE_iEESJ_T2_iiiiiiiiiiiiiii
    .private_segment_fixed_size: 0
    .sgpr_count:     64
    .sgpr_spill_count: 0
    .symbol:         _ZN2at6native12_GLOBAL__N_132conv_depthwise2d_backward_kernelILi0ELi0EN3c104HalfEiEEvN5torch10headeronly6detail27GenericPackedTensorAccessorINS7_14TensorAccessorINS3_8ArrayRefIlEEKT1_Lm3ENS6_16DefaultPtrTraitsEiEENS_6detail16IndexBoundsCheckILm4EiEESD_Lm4ESE_iEENS8_INS9_ISB_SC_Lm3ESE_iEESI_SC_Lm4ESE_iEESJ_T2_iiiiiiiiiiiiiii.kd
    .uniform_work_group_size: 1
    .uses_dynamic_stack: false
    .vgpr_count:     26
    .vgpr_spill_count: 0
    .wavefront_size: 64
  - .args:
      - .offset:         0
        .size:           40
        .value_kind:     by_value
      - .offset:         40
        .size:           40
        .value_kind:     by_value
      - .offset:         80
        .size:           40
        .value_kind:     by_value
      - .offset:         120
        .size:           4
        .value_kind:     by_value
      - .offset:         124
        .size:           4
        .value_kind:     by_value
      - .offset:         128
        .size:           4
        .value_kind:     by_value
      - .offset:         132
        .size:           4
        .value_kind:     by_value
      - .offset:         136
        .size:           4
        .value_kind:     by_value
      - .offset:         140
        .size:           4
        .value_kind:     by_value
      - .offset:         144
        .size:           4
        .value_kind:     by_value
      - .offset:         148
        .size:           4
        .value_kind:     by_value
      - .offset:         152
        .size:           4
        .value_kind:     by_value
      - .offset:         156
        .size:           4
        .value_kind:     by_value
      - .offset:         160
        .size:           4
        .value_kind:     by_value
      - .offset:         164
        .size:           4
        .value_kind:     by_value
      - .offset:         168
        .size:           4
        .value_kind:     by_value
      - .offset:         172
        .size:           4
        .value_kind:     by_value
      - .offset:         176
        .size:           4
        .value_kind:     by_value
      - .offset:         180
        .size:           4
        .value_kind:     by_value
      - .offset:         184
        .size:           4
        .value_kind:     hidden_block_count_x
      - .offset:         188
        .size:           4
        .value_kind:     hidden_block_count_y
      - .offset:         192
        .size:           4
        .value_kind:     hidden_block_count_z
      - .offset:         196
        .size:           2
        .value_kind:     hidden_group_size_x
      - .offset:         198
        .size:           2
        .value_kind:     hidden_group_size_y
      - .offset:         200
        .size:           2
        .value_kind:     hidden_group_size_z
      - .offset:         202
        .size:           2
        .value_kind:     hidden_remainder_x
      - .offset:         204
        .size:           2
        .value_kind:     hidden_remainder_y
      - .offset:         206
        .size:           2
        .value_kind:     hidden_remainder_z
      - .offset:         224
        .size:           8
        .value_kind:     hidden_global_offset_x
      - .offset:         232
        .size:           8
        .value_kind:     hidden_global_offset_y
      - .offset:         240
        .size:           8
        .value_kind:     hidden_global_offset_z
      - .offset:         248
        .size:           2
        .value_kind:     hidden_grid_dims
    .group_segment_fixed_size: 0
    .kernarg_segment_align: 8
    .kernarg_segment_size: 440
    .language:       OpenCL C
    .language_version:
      - 2
      - 0
    .max_flat_workgroup_size: 1024
    .name:           _ZN2at6native12_GLOBAL__N_132conv_depthwise2d_backward_kernelILi5ELi1EN3c108BFloat16EiEEvN5torch10headeronly6detail27GenericPackedTensorAccessorINS7_14TensorAccessorINS3_8ArrayRefIlEEKT1_Lm3ENS6_16DefaultPtrTraitsEiEENS_6detail16IndexBoundsCheckILm4EiEESD_Lm4ESE_iEENS8_INS9_ISB_SC_Lm3ESE_iEESI_SC_Lm4ESE_iEESJ_T2_iiiiiiiiiiiiiii
    .private_segment_fixed_size: 0
    .sgpr_count:     100
    .sgpr_spill_count: 2
    .symbol:         _ZN2at6native12_GLOBAL__N_132conv_depthwise2d_backward_kernelILi5ELi1EN3c108BFloat16EiEEvN5torch10headeronly6detail27GenericPackedTensorAccessorINS7_14TensorAccessorINS3_8ArrayRefIlEEKT1_Lm3ENS6_16DefaultPtrTraitsEiEENS_6detail16IndexBoundsCheckILm4EiEESD_Lm4ESE_iEENS8_INS9_ISB_SC_Lm3ESE_iEESI_SC_Lm4ESE_iEESJ_T2_iiiiiiiiiiiiiii.kd
    .uniform_work_group_size: 1
    .uses_dynamic_stack: false
    .vgpr_count:     46
    .vgpr_spill_count: 0
    .wavefront_size: 64
  - .args:
      - .offset:         0
        .size:           40
        .value_kind:     by_value
      - .offset:         40
        .size:           40
        .value_kind:     by_value
      - .offset:         80
        .size:           40
        .value_kind:     by_value
      - .offset:         120
        .size:           4
        .value_kind:     by_value
      - .offset:         124
        .size:           4
        .value_kind:     by_value
      - .offset:         128
        .size:           4
        .value_kind:     by_value
      - .offset:         132
        .size:           4
        .value_kind:     by_value
      - .offset:         136
        .size:           4
        .value_kind:     by_value
      - .offset:         140
        .size:           4
        .value_kind:     by_value
      - .offset:         144
        .size:           4
        .value_kind:     by_value
      - .offset:         148
        .size:           4
        .value_kind:     by_value
      - .offset:         152
        .size:           4
        .value_kind:     by_value
      - .offset:         156
        .size:           4
        .value_kind:     by_value
      - .offset:         160
        .size:           4
        .value_kind:     by_value
      - .offset:         164
        .size:           4
        .value_kind:     by_value
      - .offset:         168
        .size:           4
        .value_kind:     by_value
      - .offset:         172
        .size:           4
        .value_kind:     by_value
      - .offset:         176
        .size:           4
        .value_kind:     by_value
      - .offset:         180
        .size:           4
        .value_kind:     by_value
      - .offset:         184
        .size:           4
        .value_kind:     hidden_block_count_x
      - .offset:         188
        .size:           4
        .value_kind:     hidden_block_count_y
      - .offset:         192
        .size:           4
        .value_kind:     hidden_block_count_z
      - .offset:         196
        .size:           2
        .value_kind:     hidden_group_size_x
      - .offset:         198
        .size:           2
        .value_kind:     hidden_group_size_y
      - .offset:         200
        .size:           2
        .value_kind:     hidden_group_size_z
      - .offset:         202
        .size:           2
        .value_kind:     hidden_remainder_x
      - .offset:         204
        .size:           2
        .value_kind:     hidden_remainder_y
      - .offset:         206
        .size:           2
        .value_kind:     hidden_remainder_z
      - .offset:         224
        .size:           8
        .value_kind:     hidden_global_offset_x
      - .offset:         232
        .size:           8
        .value_kind:     hidden_global_offset_y
      - .offset:         240
        .size:           8
        .value_kind:     hidden_global_offset_z
      - .offset:         248
        .size:           2
        .value_kind:     hidden_grid_dims
    .group_segment_fixed_size: 0
    .kernarg_segment_align: 8
    .kernarg_segment_size: 440
    .language:       OpenCL C
    .language_version:
      - 2
      - 0
    .max_flat_workgroup_size: 1024
    .name:           _ZN2at6native12_GLOBAL__N_132conv_depthwise2d_backward_kernelILi5ELi2EN3c108BFloat16EiEEvN5torch10headeronly6detail27GenericPackedTensorAccessorINS7_14TensorAccessorINS3_8ArrayRefIlEEKT1_Lm3ENS6_16DefaultPtrTraitsEiEENS_6detail16IndexBoundsCheckILm4EiEESD_Lm4ESE_iEENS8_INS9_ISB_SC_Lm3ESE_iEESI_SC_Lm4ESE_iEESJ_T2_iiiiiiiiiiiiiii
    .private_segment_fixed_size: 0
    .sgpr_count:     95
    .sgpr_spill_count: 0
    .symbol:         _ZN2at6native12_GLOBAL__N_132conv_depthwise2d_backward_kernelILi5ELi2EN3c108BFloat16EiEEvN5torch10headeronly6detail27GenericPackedTensorAccessorINS7_14TensorAccessorINS3_8ArrayRefIlEEKT1_Lm3ENS6_16DefaultPtrTraitsEiEENS_6detail16IndexBoundsCheckILm4EiEESD_Lm4ESE_iEENS8_INS9_ISB_SC_Lm3ESE_iEESI_SC_Lm4ESE_iEESJ_T2_iiiiiiiiiiiiiii.kd
    .uniform_work_group_size: 1
    .uses_dynamic_stack: false
    .vgpr_count:     39
    .vgpr_spill_count: 0
    .wavefront_size: 64
  - .args:
      - .offset:         0
        .size:           40
        .value_kind:     by_value
      - .offset:         40
        .size:           40
        .value_kind:     by_value
      - .offset:         80
        .size:           40
        .value_kind:     by_value
      - .offset:         120
        .size:           4
        .value_kind:     by_value
      - .offset:         124
        .size:           4
        .value_kind:     by_value
      - .offset:         128
        .size:           4
        .value_kind:     by_value
      - .offset:         132
        .size:           4
        .value_kind:     by_value
      - .offset:         136
        .size:           4
        .value_kind:     by_value
      - .offset:         140
        .size:           4
        .value_kind:     by_value
      - .offset:         144
        .size:           4
        .value_kind:     by_value
      - .offset:         148
        .size:           4
        .value_kind:     by_value
      - .offset:         152
        .size:           4
        .value_kind:     by_value
      - .offset:         156
        .size:           4
        .value_kind:     by_value
      - .offset:         160
        .size:           4
        .value_kind:     by_value
      - .offset:         164
        .size:           4
        .value_kind:     by_value
      - .offset:         168
        .size:           4
        .value_kind:     by_value
      - .offset:         172
        .size:           4
        .value_kind:     by_value
      - .offset:         176
        .size:           4
        .value_kind:     by_value
      - .offset:         180
        .size:           4
        .value_kind:     by_value
      - .offset:         184
        .size:           4
        .value_kind:     hidden_block_count_x
      - .offset:         188
        .size:           4
        .value_kind:     hidden_block_count_y
      - .offset:         192
        .size:           4
        .value_kind:     hidden_block_count_z
      - .offset:         196
        .size:           2
        .value_kind:     hidden_group_size_x
      - .offset:         198
        .size:           2
        .value_kind:     hidden_group_size_y
      - .offset:         200
        .size:           2
        .value_kind:     hidden_group_size_z
      - .offset:         202
        .size:           2
        .value_kind:     hidden_remainder_x
      - .offset:         204
        .size:           2
        .value_kind:     hidden_remainder_y
      - .offset:         206
        .size:           2
        .value_kind:     hidden_remainder_z
      - .offset:         224
        .size:           8
        .value_kind:     hidden_global_offset_x
      - .offset:         232
        .size:           8
        .value_kind:     hidden_global_offset_y
      - .offset:         240
        .size:           8
        .value_kind:     hidden_global_offset_z
      - .offset:         248
        .size:           2
        .value_kind:     hidden_grid_dims
    .group_segment_fixed_size: 0
    .kernarg_segment_align: 8
    .kernarg_segment_size: 440
    .language:       OpenCL C
    .language_version:
      - 2
      - 0
    .max_flat_workgroup_size: 1024
    .name:           _ZN2at6native12_GLOBAL__N_132conv_depthwise2d_backward_kernelILi5ELi0EN3c108BFloat16EiEEvN5torch10headeronly6detail27GenericPackedTensorAccessorINS7_14TensorAccessorINS3_8ArrayRefIlEEKT1_Lm3ENS6_16DefaultPtrTraitsEiEENS_6detail16IndexBoundsCheckILm4EiEESD_Lm4ESE_iEENS8_INS9_ISB_SC_Lm3ESE_iEESI_SC_Lm4ESE_iEESJ_T2_iiiiiiiiiiiiiii
    .private_segment_fixed_size: 0
    .sgpr_count:     100
    .sgpr_spill_count: 42
    .symbol:         _ZN2at6native12_GLOBAL__N_132conv_depthwise2d_backward_kernelILi5ELi0EN3c108BFloat16EiEEvN5torch10headeronly6detail27GenericPackedTensorAccessorINS7_14TensorAccessorINS3_8ArrayRefIlEEKT1_Lm3ENS6_16DefaultPtrTraitsEiEENS_6detail16IndexBoundsCheckILm4EiEESD_Lm4ESE_iEENS8_INS9_ISB_SC_Lm3ESE_iEESI_SC_Lm4ESE_iEESJ_T2_iiiiiiiiiiiiiii.kd
    .uniform_work_group_size: 1
    .uses_dynamic_stack: false
    .vgpr_count:     46
    .vgpr_spill_count: 0
    .wavefront_size: 64
  - .args:
      - .offset:         0
        .size:           40
        .value_kind:     by_value
      - .offset:         40
        .size:           40
        .value_kind:     by_value
      - .offset:         80
        .size:           40
        .value_kind:     by_value
      - .offset:         120
        .size:           4
        .value_kind:     by_value
      - .offset:         124
        .size:           4
        .value_kind:     by_value
      - .offset:         128
        .size:           4
        .value_kind:     by_value
      - .offset:         132
        .size:           4
        .value_kind:     by_value
      - .offset:         136
        .size:           4
        .value_kind:     by_value
      - .offset:         140
        .size:           4
        .value_kind:     by_value
      - .offset:         144
        .size:           4
        .value_kind:     by_value
      - .offset:         148
        .size:           4
        .value_kind:     by_value
      - .offset:         152
        .size:           4
        .value_kind:     by_value
      - .offset:         156
        .size:           4
        .value_kind:     by_value
      - .offset:         160
        .size:           4
        .value_kind:     by_value
      - .offset:         164
        .size:           4
        .value_kind:     by_value
      - .offset:         168
        .size:           4
        .value_kind:     by_value
      - .offset:         172
        .size:           4
        .value_kind:     by_value
      - .offset:         176
        .size:           4
        .value_kind:     by_value
      - .offset:         180
        .size:           4
        .value_kind:     by_value
      - .offset:         184
        .size:           4
        .value_kind:     hidden_block_count_x
      - .offset:         188
        .size:           4
        .value_kind:     hidden_block_count_y
      - .offset:         192
        .size:           4
        .value_kind:     hidden_block_count_z
      - .offset:         196
        .size:           2
        .value_kind:     hidden_group_size_x
      - .offset:         198
        .size:           2
        .value_kind:     hidden_group_size_y
      - .offset:         200
        .size:           2
        .value_kind:     hidden_group_size_z
      - .offset:         202
        .size:           2
        .value_kind:     hidden_remainder_x
      - .offset:         204
        .size:           2
        .value_kind:     hidden_remainder_y
      - .offset:         206
        .size:           2
        .value_kind:     hidden_remainder_z
      - .offset:         224
        .size:           8
        .value_kind:     hidden_global_offset_x
      - .offset:         232
        .size:           8
        .value_kind:     hidden_global_offset_y
      - .offset:         240
        .size:           8
        .value_kind:     hidden_global_offset_z
      - .offset:         248
        .size:           2
        .value_kind:     hidden_grid_dims
    .group_segment_fixed_size: 0
    .kernarg_segment_align: 8
    .kernarg_segment_size: 440
    .language:       OpenCL C
    .language_version:
      - 2
      - 0
    .max_flat_workgroup_size: 1024
    .name:           _ZN2at6native12_GLOBAL__N_132conv_depthwise2d_backward_kernelILi3ELi1EN3c108BFloat16EiEEvN5torch10headeronly6detail27GenericPackedTensorAccessorINS7_14TensorAccessorINS3_8ArrayRefIlEEKT1_Lm3ENS6_16DefaultPtrTraitsEiEENS_6detail16IndexBoundsCheckILm4EiEESD_Lm4ESE_iEENS8_INS9_ISB_SC_Lm3ESE_iEESI_SC_Lm4ESE_iEESJ_T2_iiiiiiiiiiiiiii
    .private_segment_fixed_size: 0
    .sgpr_count:     72
    .sgpr_spill_count: 0
    .symbol:         _ZN2at6native12_GLOBAL__N_132conv_depthwise2d_backward_kernelILi3ELi1EN3c108BFloat16EiEEvN5torch10headeronly6detail27GenericPackedTensorAccessorINS7_14TensorAccessorINS3_8ArrayRefIlEEKT1_Lm3ENS6_16DefaultPtrTraitsEiEENS_6detail16IndexBoundsCheckILm4EiEESD_Lm4ESE_iEENS8_INS9_ISB_SC_Lm3ESE_iEESI_SC_Lm4ESE_iEESJ_T2_iiiiiiiiiiiiiii.kd
    .uniform_work_group_size: 1
    .uses_dynamic_stack: false
    .vgpr_count:     27
    .vgpr_spill_count: 0
    .wavefront_size: 64
  - .args:
      - .offset:         0
        .size:           40
        .value_kind:     by_value
      - .offset:         40
        .size:           40
        .value_kind:     by_value
      - .offset:         80
        .size:           40
        .value_kind:     by_value
      - .offset:         120
        .size:           4
        .value_kind:     by_value
      - .offset:         124
        .size:           4
        .value_kind:     by_value
      - .offset:         128
        .size:           4
        .value_kind:     by_value
      - .offset:         132
        .size:           4
        .value_kind:     by_value
      - .offset:         136
        .size:           4
        .value_kind:     by_value
      - .offset:         140
        .size:           4
        .value_kind:     by_value
      - .offset:         144
        .size:           4
        .value_kind:     by_value
      - .offset:         148
        .size:           4
        .value_kind:     by_value
      - .offset:         152
        .size:           4
        .value_kind:     by_value
      - .offset:         156
        .size:           4
        .value_kind:     by_value
      - .offset:         160
        .size:           4
        .value_kind:     by_value
      - .offset:         164
        .size:           4
        .value_kind:     by_value
      - .offset:         168
        .size:           4
        .value_kind:     by_value
      - .offset:         172
        .size:           4
        .value_kind:     by_value
      - .offset:         176
        .size:           4
        .value_kind:     by_value
      - .offset:         180
        .size:           4
        .value_kind:     by_value
      - .offset:         184
        .size:           4
        .value_kind:     hidden_block_count_x
      - .offset:         188
        .size:           4
        .value_kind:     hidden_block_count_y
      - .offset:         192
        .size:           4
        .value_kind:     hidden_block_count_z
      - .offset:         196
        .size:           2
        .value_kind:     hidden_group_size_x
      - .offset:         198
        .size:           2
        .value_kind:     hidden_group_size_y
      - .offset:         200
        .size:           2
        .value_kind:     hidden_group_size_z
      - .offset:         202
        .size:           2
        .value_kind:     hidden_remainder_x
      - .offset:         204
        .size:           2
        .value_kind:     hidden_remainder_y
      - .offset:         206
        .size:           2
        .value_kind:     hidden_remainder_z
      - .offset:         224
        .size:           8
        .value_kind:     hidden_global_offset_x
      - .offset:         232
        .size:           8
        .value_kind:     hidden_global_offset_y
      - .offset:         240
        .size:           8
        .value_kind:     hidden_global_offset_z
      - .offset:         248
        .size:           2
        .value_kind:     hidden_grid_dims
    .group_segment_fixed_size: 0
    .kernarg_segment_align: 8
    .kernarg_segment_size: 440
    .language:       OpenCL C
    .language_version:
      - 2
      - 0
    .max_flat_workgroup_size: 1024
    .name:           _ZN2at6native12_GLOBAL__N_132conv_depthwise2d_backward_kernelILi3ELi2EN3c108BFloat16EiEEvN5torch10headeronly6detail27GenericPackedTensorAccessorINS7_14TensorAccessorINS3_8ArrayRefIlEEKT1_Lm3ENS6_16DefaultPtrTraitsEiEENS_6detail16IndexBoundsCheckILm4EiEESD_Lm4ESE_iEENS8_INS9_ISB_SC_Lm3ESE_iEESI_SC_Lm4ESE_iEESJ_T2_iiiiiiiiiiiiiii
    .private_segment_fixed_size: 0
    .sgpr_count:     80
    .sgpr_spill_count: 0
    .symbol:         _ZN2at6native12_GLOBAL__N_132conv_depthwise2d_backward_kernelILi3ELi2EN3c108BFloat16EiEEvN5torch10headeronly6detail27GenericPackedTensorAccessorINS7_14TensorAccessorINS3_8ArrayRefIlEEKT1_Lm3ENS6_16DefaultPtrTraitsEiEENS_6detail16IndexBoundsCheckILm4EiEESD_Lm4ESE_iEENS8_INS9_ISB_SC_Lm3ESE_iEESI_SC_Lm4ESE_iEESJ_T2_iiiiiiiiiiiiiii.kd
    .uniform_work_group_size: 1
    .uses_dynamic_stack: false
    .vgpr_count:     23
    .vgpr_spill_count: 0
    .wavefront_size: 64
  - .args:
      - .offset:         0
        .size:           40
        .value_kind:     by_value
      - .offset:         40
        .size:           40
        .value_kind:     by_value
      - .offset:         80
        .size:           40
        .value_kind:     by_value
      - .offset:         120
        .size:           4
        .value_kind:     by_value
      - .offset:         124
        .size:           4
        .value_kind:     by_value
      - .offset:         128
        .size:           4
        .value_kind:     by_value
      - .offset:         132
        .size:           4
        .value_kind:     by_value
      - .offset:         136
        .size:           4
        .value_kind:     by_value
      - .offset:         140
        .size:           4
        .value_kind:     by_value
      - .offset:         144
        .size:           4
        .value_kind:     by_value
      - .offset:         148
        .size:           4
        .value_kind:     by_value
      - .offset:         152
        .size:           4
        .value_kind:     by_value
      - .offset:         156
        .size:           4
        .value_kind:     by_value
      - .offset:         160
        .size:           4
        .value_kind:     by_value
      - .offset:         164
        .size:           4
        .value_kind:     by_value
      - .offset:         168
        .size:           4
        .value_kind:     by_value
      - .offset:         172
        .size:           4
        .value_kind:     by_value
      - .offset:         176
        .size:           4
        .value_kind:     by_value
      - .offset:         180
        .size:           4
        .value_kind:     by_value
      - .offset:         184
        .size:           4
        .value_kind:     hidden_block_count_x
      - .offset:         188
        .size:           4
        .value_kind:     hidden_block_count_y
      - .offset:         192
        .size:           4
        .value_kind:     hidden_block_count_z
      - .offset:         196
        .size:           2
        .value_kind:     hidden_group_size_x
      - .offset:         198
        .size:           2
        .value_kind:     hidden_group_size_y
      - .offset:         200
        .size:           2
        .value_kind:     hidden_group_size_z
      - .offset:         202
        .size:           2
        .value_kind:     hidden_remainder_x
      - .offset:         204
        .size:           2
        .value_kind:     hidden_remainder_y
      - .offset:         206
        .size:           2
        .value_kind:     hidden_remainder_z
      - .offset:         224
        .size:           8
        .value_kind:     hidden_global_offset_x
      - .offset:         232
        .size:           8
        .value_kind:     hidden_global_offset_y
      - .offset:         240
        .size:           8
        .value_kind:     hidden_global_offset_z
      - .offset:         248
        .size:           2
        .value_kind:     hidden_grid_dims
    .group_segment_fixed_size: 0
    .kernarg_segment_align: 8
    .kernarg_segment_size: 440
    .language:       OpenCL C
    .language_version:
      - 2
      - 0
    .max_flat_workgroup_size: 1024
    .name:           _ZN2at6native12_GLOBAL__N_132conv_depthwise2d_backward_kernelILi3ELi0EN3c108BFloat16EiEEvN5torch10headeronly6detail27GenericPackedTensorAccessorINS7_14TensorAccessorINS3_8ArrayRefIlEEKT1_Lm3ENS6_16DefaultPtrTraitsEiEENS_6detail16IndexBoundsCheckILm4EiEESD_Lm4ESE_iEENS8_INS9_ISB_SC_Lm3ESE_iEESI_SC_Lm4ESE_iEESJ_T2_iiiiiiiiiiiiiii
    .private_segment_fixed_size: 0
    .sgpr_count:     97
    .sgpr_spill_count: 0
    .symbol:         _ZN2at6native12_GLOBAL__N_132conv_depthwise2d_backward_kernelILi3ELi0EN3c108BFloat16EiEEvN5torch10headeronly6detail27GenericPackedTensorAccessorINS7_14TensorAccessorINS3_8ArrayRefIlEEKT1_Lm3ENS6_16DefaultPtrTraitsEiEENS_6detail16IndexBoundsCheckILm4EiEESD_Lm4ESE_iEENS8_INS9_ISB_SC_Lm3ESE_iEESI_SC_Lm4ESE_iEESJ_T2_iiiiiiiiiiiiiii.kd
    .uniform_work_group_size: 1
    .uses_dynamic_stack: false
    .vgpr_count:     30
    .vgpr_spill_count: 0
    .wavefront_size: 64
  - .args:
      - .offset:         0
        .size:           40
        .value_kind:     by_value
      - .offset:         40
        .size:           40
        .value_kind:     by_value
      - .offset:         80
        .size:           40
        .value_kind:     by_value
      - .offset:         120
        .size:           4
        .value_kind:     by_value
      - .offset:         124
        .size:           4
        .value_kind:     by_value
      - .offset:         128
        .size:           4
        .value_kind:     by_value
      - .offset:         132
        .size:           4
        .value_kind:     by_value
      - .offset:         136
        .size:           4
        .value_kind:     by_value
      - .offset:         140
        .size:           4
        .value_kind:     by_value
      - .offset:         144
        .size:           4
        .value_kind:     by_value
      - .offset:         148
        .size:           4
        .value_kind:     by_value
      - .offset:         152
        .size:           4
        .value_kind:     by_value
      - .offset:         156
        .size:           4
        .value_kind:     by_value
      - .offset:         160
        .size:           4
        .value_kind:     by_value
      - .offset:         164
        .size:           4
        .value_kind:     by_value
      - .offset:         168
        .size:           4
        .value_kind:     by_value
      - .offset:         172
        .size:           4
        .value_kind:     by_value
      - .offset:         176
        .size:           4
        .value_kind:     by_value
      - .offset:         180
        .size:           4
        .value_kind:     by_value
      - .offset:         184
        .size:           4
        .value_kind:     hidden_block_count_x
      - .offset:         188
        .size:           4
        .value_kind:     hidden_block_count_y
      - .offset:         192
        .size:           4
        .value_kind:     hidden_block_count_z
      - .offset:         196
        .size:           2
        .value_kind:     hidden_group_size_x
      - .offset:         198
        .size:           2
        .value_kind:     hidden_group_size_y
      - .offset:         200
        .size:           2
        .value_kind:     hidden_group_size_z
      - .offset:         202
        .size:           2
        .value_kind:     hidden_remainder_x
      - .offset:         204
        .size:           2
        .value_kind:     hidden_remainder_y
      - .offset:         206
        .size:           2
        .value_kind:     hidden_remainder_z
      - .offset:         224
        .size:           8
        .value_kind:     hidden_global_offset_x
      - .offset:         232
        .size:           8
        .value_kind:     hidden_global_offset_y
      - .offset:         240
        .size:           8
        .value_kind:     hidden_global_offset_z
      - .offset:         248
        .size:           2
        .value_kind:     hidden_grid_dims
    .group_segment_fixed_size: 0
    .kernarg_segment_align: 8
    .kernarg_segment_size: 440
    .language:       OpenCL C
    .language_version:
      - 2
      - 0
    .max_flat_workgroup_size: 1024
    .name:           _ZN2at6native12_GLOBAL__N_132conv_depthwise2d_backward_kernelILi1ELi1EN3c108BFloat16EiEEvN5torch10headeronly6detail27GenericPackedTensorAccessorINS7_14TensorAccessorINS3_8ArrayRefIlEEKT1_Lm3ENS6_16DefaultPtrTraitsEiEENS_6detail16IndexBoundsCheckILm4EiEESD_Lm4ESE_iEENS8_INS9_ISB_SC_Lm3ESE_iEESI_SC_Lm4ESE_iEESJ_T2_iiiiiiiiiiiiiii
    .private_segment_fixed_size: 0
    .sgpr_count:     44
    .sgpr_spill_count: 0
    .symbol:         _ZN2at6native12_GLOBAL__N_132conv_depthwise2d_backward_kernelILi1ELi1EN3c108BFloat16EiEEvN5torch10headeronly6detail27GenericPackedTensorAccessorINS7_14TensorAccessorINS3_8ArrayRefIlEEKT1_Lm3ENS6_16DefaultPtrTraitsEiEENS_6detail16IndexBoundsCheckILm4EiEESD_Lm4ESE_iEENS8_INS9_ISB_SC_Lm3ESE_iEESI_SC_Lm4ESE_iEESJ_T2_iiiiiiiiiiiiiii.kd
    .uniform_work_group_size: 1
    .uses_dynamic_stack: false
    .vgpr_count:     16
    .vgpr_spill_count: 0
    .wavefront_size: 64
  - .args:
      - .offset:         0
        .size:           40
        .value_kind:     by_value
      - .offset:         40
        .size:           40
        .value_kind:     by_value
      - .offset:         80
        .size:           40
        .value_kind:     by_value
      - .offset:         120
        .size:           4
        .value_kind:     by_value
      - .offset:         124
        .size:           4
        .value_kind:     by_value
      - .offset:         128
        .size:           4
        .value_kind:     by_value
      - .offset:         132
        .size:           4
        .value_kind:     by_value
      - .offset:         136
        .size:           4
        .value_kind:     by_value
      - .offset:         140
        .size:           4
        .value_kind:     by_value
      - .offset:         144
        .size:           4
        .value_kind:     by_value
      - .offset:         148
        .size:           4
        .value_kind:     by_value
      - .offset:         152
        .size:           4
        .value_kind:     by_value
      - .offset:         156
        .size:           4
        .value_kind:     by_value
      - .offset:         160
        .size:           4
        .value_kind:     by_value
      - .offset:         164
        .size:           4
        .value_kind:     by_value
      - .offset:         168
        .size:           4
        .value_kind:     by_value
      - .offset:         172
        .size:           4
        .value_kind:     by_value
      - .offset:         176
        .size:           4
        .value_kind:     by_value
      - .offset:         180
        .size:           4
        .value_kind:     by_value
      - .offset:         184
        .size:           4
        .value_kind:     hidden_block_count_x
      - .offset:         188
        .size:           4
        .value_kind:     hidden_block_count_y
      - .offset:         192
        .size:           4
        .value_kind:     hidden_block_count_z
      - .offset:         196
        .size:           2
        .value_kind:     hidden_group_size_x
      - .offset:         198
        .size:           2
        .value_kind:     hidden_group_size_y
      - .offset:         200
        .size:           2
        .value_kind:     hidden_group_size_z
      - .offset:         202
        .size:           2
        .value_kind:     hidden_remainder_x
      - .offset:         204
        .size:           2
        .value_kind:     hidden_remainder_y
      - .offset:         206
        .size:           2
        .value_kind:     hidden_remainder_z
      - .offset:         224
        .size:           8
        .value_kind:     hidden_global_offset_x
      - .offset:         232
        .size:           8
        .value_kind:     hidden_global_offset_y
      - .offset:         240
        .size:           8
        .value_kind:     hidden_global_offset_z
      - .offset:         248
        .size:           2
        .value_kind:     hidden_grid_dims
    .group_segment_fixed_size: 0
    .kernarg_segment_align: 8
    .kernarg_segment_size: 440
    .language:       OpenCL C
    .language_version:
      - 2
      - 0
    .max_flat_workgroup_size: 1024
    .name:           _ZN2at6native12_GLOBAL__N_132conv_depthwise2d_backward_kernelILi1ELi2EN3c108BFloat16EiEEvN5torch10headeronly6detail27GenericPackedTensorAccessorINS7_14TensorAccessorINS3_8ArrayRefIlEEKT1_Lm3ENS6_16DefaultPtrTraitsEiEENS_6detail16IndexBoundsCheckILm4EiEESD_Lm4ESE_iEENS8_INS9_ISB_SC_Lm3ESE_iEESI_SC_Lm4ESE_iEESJ_T2_iiiiiiiiiiiiiii
    .private_segment_fixed_size: 0
    .sgpr_count:     48
    .sgpr_spill_count: 0
    .symbol:         _ZN2at6native12_GLOBAL__N_132conv_depthwise2d_backward_kernelILi1ELi2EN3c108BFloat16EiEEvN5torch10headeronly6detail27GenericPackedTensorAccessorINS7_14TensorAccessorINS3_8ArrayRefIlEEKT1_Lm3ENS6_16DefaultPtrTraitsEiEENS_6detail16IndexBoundsCheckILm4EiEESD_Lm4ESE_iEENS8_INS9_ISB_SC_Lm3ESE_iEESI_SC_Lm4ESE_iEESJ_T2_iiiiiiiiiiiiiii.kd
    .uniform_work_group_size: 1
    .uses_dynamic_stack: false
    .vgpr_count:     15
    .vgpr_spill_count: 0
    .wavefront_size: 64
  - .args:
      - .offset:         0
        .size:           40
        .value_kind:     by_value
      - .offset:         40
        .size:           40
        .value_kind:     by_value
      - .offset:         80
        .size:           40
        .value_kind:     by_value
      - .offset:         120
        .size:           4
        .value_kind:     by_value
      - .offset:         124
        .size:           4
        .value_kind:     by_value
      - .offset:         128
        .size:           4
        .value_kind:     by_value
      - .offset:         132
        .size:           4
        .value_kind:     by_value
      - .offset:         136
        .size:           4
        .value_kind:     by_value
      - .offset:         140
        .size:           4
        .value_kind:     by_value
      - .offset:         144
        .size:           4
        .value_kind:     by_value
      - .offset:         148
        .size:           4
        .value_kind:     by_value
      - .offset:         152
        .size:           4
        .value_kind:     by_value
      - .offset:         156
        .size:           4
        .value_kind:     by_value
      - .offset:         160
        .size:           4
        .value_kind:     by_value
      - .offset:         164
        .size:           4
        .value_kind:     by_value
      - .offset:         168
        .size:           4
        .value_kind:     by_value
      - .offset:         172
        .size:           4
        .value_kind:     by_value
      - .offset:         176
        .size:           4
        .value_kind:     by_value
      - .offset:         180
        .size:           4
        .value_kind:     by_value
      - .offset:         184
        .size:           4
        .value_kind:     hidden_block_count_x
      - .offset:         188
        .size:           4
        .value_kind:     hidden_block_count_y
      - .offset:         192
        .size:           4
        .value_kind:     hidden_block_count_z
      - .offset:         196
        .size:           2
        .value_kind:     hidden_group_size_x
      - .offset:         198
        .size:           2
        .value_kind:     hidden_group_size_y
      - .offset:         200
        .size:           2
        .value_kind:     hidden_group_size_z
      - .offset:         202
        .size:           2
        .value_kind:     hidden_remainder_x
      - .offset:         204
        .size:           2
        .value_kind:     hidden_remainder_y
      - .offset:         206
        .size:           2
        .value_kind:     hidden_remainder_z
      - .offset:         224
        .size:           8
        .value_kind:     hidden_global_offset_x
      - .offset:         232
        .size:           8
        .value_kind:     hidden_global_offset_y
      - .offset:         240
        .size:           8
        .value_kind:     hidden_global_offset_z
      - .offset:         248
        .size:           2
        .value_kind:     hidden_grid_dims
    .group_segment_fixed_size: 0
    .kernarg_segment_align: 8
    .kernarg_segment_size: 440
    .language:       OpenCL C
    .language_version:
      - 2
      - 0
    .max_flat_workgroup_size: 1024
    .name:           _ZN2at6native12_GLOBAL__N_132conv_depthwise2d_backward_kernelILi1ELi0EN3c108BFloat16EiEEvN5torch10headeronly6detail27GenericPackedTensorAccessorINS7_14TensorAccessorINS3_8ArrayRefIlEEKT1_Lm3ENS6_16DefaultPtrTraitsEiEENS_6detail16IndexBoundsCheckILm4EiEESD_Lm4ESE_iEENS8_INS9_ISB_SC_Lm3ESE_iEESI_SC_Lm4ESE_iEESJ_T2_iiiiiiiiiiiiiii
    .private_segment_fixed_size: 0
    .sgpr_count:     56
    .sgpr_spill_count: 0
    .symbol:         _ZN2at6native12_GLOBAL__N_132conv_depthwise2d_backward_kernelILi1ELi0EN3c108BFloat16EiEEvN5torch10headeronly6detail27GenericPackedTensorAccessorINS7_14TensorAccessorINS3_8ArrayRefIlEEKT1_Lm3ENS6_16DefaultPtrTraitsEiEENS_6detail16IndexBoundsCheckILm4EiEESD_Lm4ESE_iEENS8_INS9_ISB_SC_Lm3ESE_iEESI_SC_Lm4ESE_iEESJ_T2_iiiiiiiiiiiiiii.kd
    .uniform_work_group_size: 1
    .uses_dynamic_stack: false
    .vgpr_count:     19
    .vgpr_spill_count: 0
    .wavefront_size: 64
  - .args:
      - .offset:         0
        .size:           40
        .value_kind:     by_value
      - .offset:         40
        .size:           40
        .value_kind:     by_value
      - .offset:         80
        .size:           40
        .value_kind:     by_value
      - .offset:         120
        .size:           4
        .value_kind:     by_value
      - .offset:         124
        .size:           4
        .value_kind:     by_value
      - .offset:         128
        .size:           4
        .value_kind:     by_value
      - .offset:         132
        .size:           4
        .value_kind:     by_value
      - .offset:         136
        .size:           4
        .value_kind:     by_value
      - .offset:         140
        .size:           4
        .value_kind:     by_value
      - .offset:         144
        .size:           4
        .value_kind:     by_value
      - .offset:         148
        .size:           4
        .value_kind:     by_value
      - .offset:         152
        .size:           4
        .value_kind:     by_value
      - .offset:         156
        .size:           4
        .value_kind:     by_value
      - .offset:         160
        .size:           4
        .value_kind:     by_value
      - .offset:         164
        .size:           4
        .value_kind:     by_value
      - .offset:         168
        .size:           4
        .value_kind:     by_value
      - .offset:         172
        .size:           4
        .value_kind:     by_value
      - .offset:         176
        .size:           4
        .value_kind:     by_value
      - .offset:         180
        .size:           4
        .value_kind:     by_value
      - .offset:         184
        .size:           4
        .value_kind:     hidden_block_count_x
      - .offset:         188
        .size:           4
        .value_kind:     hidden_block_count_y
      - .offset:         192
        .size:           4
        .value_kind:     hidden_block_count_z
      - .offset:         196
        .size:           2
        .value_kind:     hidden_group_size_x
      - .offset:         198
        .size:           2
        .value_kind:     hidden_group_size_y
      - .offset:         200
        .size:           2
        .value_kind:     hidden_group_size_z
      - .offset:         202
        .size:           2
        .value_kind:     hidden_remainder_x
      - .offset:         204
        .size:           2
        .value_kind:     hidden_remainder_y
      - .offset:         206
        .size:           2
        .value_kind:     hidden_remainder_z
      - .offset:         224
        .size:           8
        .value_kind:     hidden_global_offset_x
      - .offset:         232
        .size:           8
        .value_kind:     hidden_global_offset_y
      - .offset:         240
        .size:           8
        .value_kind:     hidden_global_offset_z
      - .offset:         248
        .size:           2
        .value_kind:     hidden_grid_dims
    .group_segment_fixed_size: 0
    .kernarg_segment_align: 8
    .kernarg_segment_size: 440
    .language:       OpenCL C
    .language_version:
      - 2
      - 0
    .max_flat_workgroup_size: 1024
    .name:           _ZN2at6native12_GLOBAL__N_132conv_depthwise2d_backward_kernelILi0ELi1EN3c108BFloat16EiEEvN5torch10headeronly6detail27GenericPackedTensorAccessorINS7_14TensorAccessorINS3_8ArrayRefIlEEKT1_Lm3ENS6_16DefaultPtrTraitsEiEENS_6detail16IndexBoundsCheckILm4EiEESD_Lm4ESE_iEENS8_INS9_ISB_SC_Lm3ESE_iEESI_SC_Lm4ESE_iEESJ_T2_iiiiiiiiiiiiiii
    .private_segment_fixed_size: 0
    .sgpr_count:     57
    .sgpr_spill_count: 0
    .symbol:         _ZN2at6native12_GLOBAL__N_132conv_depthwise2d_backward_kernelILi0ELi1EN3c108BFloat16EiEEvN5torch10headeronly6detail27GenericPackedTensorAccessorINS7_14TensorAccessorINS3_8ArrayRefIlEEKT1_Lm3ENS6_16DefaultPtrTraitsEiEENS_6detail16IndexBoundsCheckILm4EiEESD_Lm4ESE_iEENS8_INS9_ISB_SC_Lm3ESE_iEESI_SC_Lm4ESE_iEESJ_T2_iiiiiiiiiiiiiii.kd
    .uniform_work_group_size: 1
    .uses_dynamic_stack: false
    .vgpr_count:     21
    .vgpr_spill_count: 0
    .wavefront_size: 64
  - .args:
      - .offset:         0
        .size:           40
        .value_kind:     by_value
      - .offset:         40
        .size:           40
        .value_kind:     by_value
      - .offset:         80
        .size:           40
        .value_kind:     by_value
      - .offset:         120
        .size:           4
        .value_kind:     by_value
      - .offset:         124
        .size:           4
        .value_kind:     by_value
      - .offset:         128
        .size:           4
        .value_kind:     by_value
      - .offset:         132
        .size:           4
        .value_kind:     by_value
      - .offset:         136
        .size:           4
        .value_kind:     by_value
      - .offset:         140
        .size:           4
        .value_kind:     by_value
      - .offset:         144
        .size:           4
        .value_kind:     by_value
      - .offset:         148
        .size:           4
        .value_kind:     by_value
      - .offset:         152
        .size:           4
        .value_kind:     by_value
      - .offset:         156
        .size:           4
        .value_kind:     by_value
      - .offset:         160
        .size:           4
        .value_kind:     by_value
      - .offset:         164
        .size:           4
        .value_kind:     by_value
      - .offset:         168
        .size:           4
        .value_kind:     by_value
      - .offset:         172
        .size:           4
        .value_kind:     by_value
      - .offset:         176
        .size:           4
        .value_kind:     by_value
      - .offset:         180
        .size:           4
        .value_kind:     by_value
      - .offset:         184
        .size:           4
        .value_kind:     hidden_block_count_x
      - .offset:         188
        .size:           4
        .value_kind:     hidden_block_count_y
      - .offset:         192
        .size:           4
        .value_kind:     hidden_block_count_z
      - .offset:         196
        .size:           2
        .value_kind:     hidden_group_size_x
      - .offset:         198
        .size:           2
        .value_kind:     hidden_group_size_y
      - .offset:         200
        .size:           2
        .value_kind:     hidden_group_size_z
      - .offset:         202
        .size:           2
        .value_kind:     hidden_remainder_x
      - .offset:         204
        .size:           2
        .value_kind:     hidden_remainder_y
      - .offset:         206
        .size:           2
        .value_kind:     hidden_remainder_z
      - .offset:         224
        .size:           8
        .value_kind:     hidden_global_offset_x
      - .offset:         232
        .size:           8
        .value_kind:     hidden_global_offset_y
      - .offset:         240
        .size:           8
        .value_kind:     hidden_global_offset_z
      - .offset:         248
        .size:           2
        .value_kind:     hidden_grid_dims
    .group_segment_fixed_size: 0
    .kernarg_segment_align: 8
    .kernarg_segment_size: 440
    .language:       OpenCL C
    .language_version:
      - 2
      - 0
    .max_flat_workgroup_size: 1024
    .name:           _ZN2at6native12_GLOBAL__N_132conv_depthwise2d_backward_kernelILi0ELi2EN3c108BFloat16EiEEvN5torch10headeronly6detail27GenericPackedTensorAccessorINS7_14TensorAccessorINS3_8ArrayRefIlEEKT1_Lm3ENS6_16DefaultPtrTraitsEiEENS_6detail16IndexBoundsCheckILm4EiEESD_Lm4ESE_iEENS8_INS9_ISB_SC_Lm3ESE_iEESI_SC_Lm4ESE_iEESJ_T2_iiiiiiiiiiiiiii
    .private_segment_fixed_size: 0
    .sgpr_count:     59
    .sgpr_spill_count: 0
    .symbol:         _ZN2at6native12_GLOBAL__N_132conv_depthwise2d_backward_kernelILi0ELi2EN3c108BFloat16EiEEvN5torch10headeronly6detail27GenericPackedTensorAccessorINS7_14TensorAccessorINS3_8ArrayRefIlEEKT1_Lm3ENS6_16DefaultPtrTraitsEiEENS_6detail16IndexBoundsCheckILm4EiEESD_Lm4ESE_iEENS8_INS9_ISB_SC_Lm3ESE_iEESI_SC_Lm4ESE_iEESJ_T2_iiiiiiiiiiiiiii.kd
    .uniform_work_group_size: 1
    .uses_dynamic_stack: false
    .vgpr_count:     23
    .vgpr_spill_count: 0
    .wavefront_size: 64
  - .args:
      - .offset:         0
        .size:           40
        .value_kind:     by_value
      - .offset:         40
        .size:           40
        .value_kind:     by_value
      - .offset:         80
        .size:           40
        .value_kind:     by_value
      - .offset:         120
        .size:           4
        .value_kind:     by_value
      - .offset:         124
        .size:           4
        .value_kind:     by_value
      - .offset:         128
        .size:           4
        .value_kind:     by_value
      - .offset:         132
        .size:           4
        .value_kind:     by_value
      - .offset:         136
        .size:           4
        .value_kind:     by_value
      - .offset:         140
        .size:           4
        .value_kind:     by_value
      - .offset:         144
        .size:           4
        .value_kind:     by_value
      - .offset:         148
        .size:           4
        .value_kind:     by_value
      - .offset:         152
        .size:           4
        .value_kind:     by_value
      - .offset:         156
        .size:           4
        .value_kind:     by_value
      - .offset:         160
        .size:           4
        .value_kind:     by_value
      - .offset:         164
        .size:           4
        .value_kind:     by_value
      - .offset:         168
        .size:           4
        .value_kind:     by_value
      - .offset:         172
        .size:           4
        .value_kind:     by_value
      - .offset:         176
        .size:           4
        .value_kind:     by_value
      - .offset:         180
        .size:           4
        .value_kind:     by_value
      - .offset:         184
        .size:           4
        .value_kind:     hidden_block_count_x
      - .offset:         188
        .size:           4
        .value_kind:     hidden_block_count_y
      - .offset:         192
        .size:           4
        .value_kind:     hidden_block_count_z
      - .offset:         196
        .size:           2
        .value_kind:     hidden_group_size_x
      - .offset:         198
        .size:           2
        .value_kind:     hidden_group_size_y
      - .offset:         200
        .size:           2
        .value_kind:     hidden_group_size_z
      - .offset:         202
        .size:           2
        .value_kind:     hidden_remainder_x
      - .offset:         204
        .size:           2
        .value_kind:     hidden_remainder_y
      - .offset:         206
        .size:           2
        .value_kind:     hidden_remainder_z
      - .offset:         224
        .size:           8
        .value_kind:     hidden_global_offset_x
      - .offset:         232
        .size:           8
        .value_kind:     hidden_global_offset_y
      - .offset:         240
        .size:           8
        .value_kind:     hidden_global_offset_z
      - .offset:         248
        .size:           2
        .value_kind:     hidden_grid_dims
    .group_segment_fixed_size: 0
    .kernarg_segment_align: 8
    .kernarg_segment_size: 440
    .language:       OpenCL C
    .language_version:
      - 2
      - 0
    .max_flat_workgroup_size: 1024
    .name:           _ZN2at6native12_GLOBAL__N_132conv_depthwise2d_backward_kernelILi0ELi0EN3c108BFloat16EiEEvN5torch10headeronly6detail27GenericPackedTensorAccessorINS7_14TensorAccessorINS3_8ArrayRefIlEEKT1_Lm3ENS6_16DefaultPtrTraitsEiEENS_6detail16IndexBoundsCheckILm4EiEESD_Lm4ESE_iEENS8_INS9_ISB_SC_Lm3ESE_iEESI_SC_Lm4ESE_iEESJ_T2_iiiiiiiiiiiiiii
    .private_segment_fixed_size: 0
    .sgpr_count:     65
    .sgpr_spill_count: 0
    .symbol:         _ZN2at6native12_GLOBAL__N_132conv_depthwise2d_backward_kernelILi0ELi0EN3c108BFloat16EiEEvN5torch10headeronly6detail27GenericPackedTensorAccessorINS7_14TensorAccessorINS3_8ArrayRefIlEEKT1_Lm3ENS6_16DefaultPtrTraitsEiEENS_6detail16IndexBoundsCheckILm4EiEESD_Lm4ESE_iEENS8_INS9_ISB_SC_Lm3ESE_iEESI_SC_Lm4ESE_iEESJ_T2_iiiiiiiiiiiiiii.kd
    .uniform_work_group_size: 1
    .uses_dynamic_stack: false
    .vgpr_count:     27
    .vgpr_spill_count: 0
    .wavefront_size: 64
  - .args:
      - .offset:         0
        .size:           40
        .value_kind:     by_value
      - .offset:         40
        .size:           40
        .value_kind:     by_value
      - .offset:         80
        .size:           40
        .value_kind:     by_value
      - .offset:         120
        .size:           4
        .value_kind:     by_value
      - .offset:         124
        .size:           4
        .value_kind:     by_value
      - .offset:         128
        .size:           4
        .value_kind:     by_value
      - .offset:         132
        .size:           4
        .value_kind:     by_value
      - .offset:         136
        .size:           4
        .value_kind:     by_value
      - .offset:         140
        .size:           4
        .value_kind:     by_value
      - .offset:         144
        .size:           4
        .value_kind:     by_value
      - .offset:         148
        .size:           4
        .value_kind:     by_value
      - .offset:         152
        .size:           4
        .value_kind:     by_value
      - .offset:         156
        .size:           4
        .value_kind:     by_value
      - .offset:         160
        .size:           4
        .value_kind:     by_value
      - .offset:         164
        .size:           4
        .value_kind:     by_value
      - .offset:         168
        .size:           4
        .value_kind:     by_value
      - .offset:         172
        .size:           4
        .value_kind:     by_value
      - .offset:         176
        .size:           4
        .value_kind:     by_value
      - .offset:         180
        .size:           4
        .value_kind:     by_value
      - .offset:         184
        .size:           4
        .value_kind:     hidden_block_count_x
      - .offset:         188
        .size:           4
        .value_kind:     hidden_block_count_y
      - .offset:         192
        .size:           4
        .value_kind:     hidden_block_count_z
      - .offset:         196
        .size:           2
        .value_kind:     hidden_group_size_x
      - .offset:         198
        .size:           2
        .value_kind:     hidden_group_size_y
      - .offset:         200
        .size:           2
        .value_kind:     hidden_group_size_z
      - .offset:         202
        .size:           2
        .value_kind:     hidden_remainder_x
      - .offset:         204
        .size:           2
        .value_kind:     hidden_remainder_y
      - .offset:         206
        .size:           2
        .value_kind:     hidden_remainder_z
      - .offset:         224
        .size:           8
        .value_kind:     hidden_global_offset_x
      - .offset:         232
        .size:           8
        .value_kind:     hidden_global_offset_y
      - .offset:         240
        .size:           8
        .value_kind:     hidden_global_offset_z
      - .offset:         248
        .size:           2
        .value_kind:     hidden_grid_dims
      - .offset:         304
        .size:           4
        .value_kind:     hidden_dynamic_lds_size
    .group_segment_fixed_size: 0
    .kernarg_segment_align: 8
    .kernarg_segment_size: 440
    .language:       OpenCL C
    .language_version:
      - 2
      - 0
    .max_flat_workgroup_size: 1024
    .name:           _ZN2at6native12_GLOBAL__N_135conv_depthwise2d_grad_weight_kernelIdjEEvN5torch10headeronly6detail27GenericPackedTensorAccessorINS5_14TensorAccessorIN3c108ArrayRefIlEEKT_Lm3ENS4_16DefaultPtrTraitsEiEENS_6detail16IndexBoundsCheckILm4EiEESC_Lm4ESD_iEESI_NS6_INS7_ISA_SB_Lm3ESD_iEESH_SB_Lm4ESD_iEEiiiiiiiiiiiiiiii
    .private_segment_fixed_size: 0
    .sgpr_count:     44
    .sgpr_spill_count: 0
    .symbol:         _ZN2at6native12_GLOBAL__N_135conv_depthwise2d_grad_weight_kernelIdjEEvN5torch10headeronly6detail27GenericPackedTensorAccessorINS5_14TensorAccessorIN3c108ArrayRefIlEEKT_Lm3ENS4_16DefaultPtrTraitsEiEENS_6detail16IndexBoundsCheckILm4EiEESC_Lm4ESD_iEESI_NS6_INS7_ISA_SB_Lm3ESD_iEESH_SB_Lm4ESD_iEEiiiiiiiiiiiiiiii.kd
    .uniform_work_group_size: 1
    .uses_dynamic_stack: false
    .vgpr_count:     19
    .vgpr_spill_count: 0
    .wavefront_size: 64
  - .args:
      - .offset:         0
        .size:           40
        .value_kind:     by_value
      - .offset:         40
        .size:           40
        .value_kind:     by_value
      - .offset:         80
        .size:           40
        .value_kind:     by_value
      - .offset:         120
        .size:           4
        .value_kind:     by_value
      - .offset:         124
        .size:           4
        .value_kind:     by_value
      - .offset:         128
        .size:           4
        .value_kind:     by_value
      - .offset:         132
        .size:           4
        .value_kind:     by_value
      - .offset:         136
        .size:           4
        .value_kind:     by_value
      - .offset:         140
        .size:           4
        .value_kind:     by_value
      - .offset:         144
        .size:           4
        .value_kind:     by_value
      - .offset:         148
        .size:           4
        .value_kind:     by_value
      - .offset:         152
        .size:           4
        .value_kind:     by_value
      - .offset:         156
        .size:           4
        .value_kind:     by_value
      - .offset:         160
        .size:           4
        .value_kind:     by_value
      - .offset:         164
        .size:           4
        .value_kind:     by_value
      - .offset:         168
        .size:           4
        .value_kind:     by_value
      - .offset:         172
        .size:           4
        .value_kind:     by_value
      - .offset:         176
        .size:           4
        .value_kind:     by_value
      - .offset:         180
        .size:           4
        .value_kind:     by_value
      - .offset:         184
        .size:           4
        .value_kind:     hidden_block_count_x
      - .offset:         188
        .size:           4
        .value_kind:     hidden_block_count_y
      - .offset:         192
        .size:           4
        .value_kind:     hidden_block_count_z
      - .offset:         196
        .size:           2
        .value_kind:     hidden_group_size_x
      - .offset:         198
        .size:           2
        .value_kind:     hidden_group_size_y
      - .offset:         200
        .size:           2
        .value_kind:     hidden_group_size_z
      - .offset:         202
        .size:           2
        .value_kind:     hidden_remainder_x
      - .offset:         204
        .size:           2
        .value_kind:     hidden_remainder_y
      - .offset:         206
        .size:           2
        .value_kind:     hidden_remainder_z
      - .offset:         224
        .size:           8
        .value_kind:     hidden_global_offset_x
      - .offset:         232
        .size:           8
        .value_kind:     hidden_global_offset_y
      - .offset:         240
        .size:           8
        .value_kind:     hidden_global_offset_z
      - .offset:         248
        .size:           2
        .value_kind:     hidden_grid_dims
      - .offset:         304
        .size:           4
        .value_kind:     hidden_dynamic_lds_size
    .group_segment_fixed_size: 0
    .kernarg_segment_align: 8
    .kernarg_segment_size: 440
    .language:       OpenCL C
    .language_version:
      - 2
      - 0
    .max_flat_workgroup_size: 1024
    .name:           _ZN2at6native12_GLOBAL__N_135conv_depthwise2d_grad_weight_kernelIfjEEvN5torch10headeronly6detail27GenericPackedTensorAccessorINS5_14TensorAccessorIN3c108ArrayRefIlEEKT_Lm3ENS4_16DefaultPtrTraitsEiEENS_6detail16IndexBoundsCheckILm4EiEESC_Lm4ESD_iEESI_NS6_INS7_ISA_SB_Lm3ESD_iEESH_SB_Lm4ESD_iEEiiiiiiiiiiiiiiii
    .private_segment_fixed_size: 0
    .sgpr_count:     44
    .sgpr_spill_count: 0
    .symbol:         _ZN2at6native12_GLOBAL__N_135conv_depthwise2d_grad_weight_kernelIfjEEvN5torch10headeronly6detail27GenericPackedTensorAccessorINS5_14TensorAccessorIN3c108ArrayRefIlEEKT_Lm3ENS4_16DefaultPtrTraitsEiEENS_6detail16IndexBoundsCheckILm4EiEESC_Lm4ESD_iEESI_NS6_INS7_ISA_SB_Lm3ESD_iEESH_SB_Lm4ESD_iEEiiiiiiiiiiiiiiii.kd
    .uniform_work_group_size: 1
    .uses_dynamic_stack: false
    .vgpr_count:     18
    .vgpr_spill_count: 0
    .wavefront_size: 64
  - .args:
      - .offset:         0
        .size:           40
        .value_kind:     by_value
      - .offset:         40
        .size:           40
        .value_kind:     by_value
      - .offset:         80
        .size:           40
        .value_kind:     by_value
      - .offset:         120
        .size:           4
        .value_kind:     by_value
      - .offset:         124
        .size:           4
        .value_kind:     by_value
      - .offset:         128
        .size:           4
        .value_kind:     by_value
      - .offset:         132
        .size:           4
        .value_kind:     by_value
      - .offset:         136
        .size:           4
        .value_kind:     by_value
      - .offset:         140
        .size:           4
        .value_kind:     by_value
      - .offset:         144
        .size:           4
        .value_kind:     by_value
      - .offset:         148
        .size:           4
        .value_kind:     by_value
      - .offset:         152
        .size:           4
        .value_kind:     by_value
      - .offset:         156
        .size:           4
        .value_kind:     by_value
      - .offset:         160
        .size:           4
        .value_kind:     by_value
      - .offset:         164
        .size:           4
        .value_kind:     by_value
      - .offset:         168
        .size:           4
        .value_kind:     by_value
      - .offset:         172
        .size:           4
        .value_kind:     by_value
      - .offset:         176
        .size:           4
        .value_kind:     by_value
      - .offset:         180
        .size:           4
        .value_kind:     by_value
      - .offset:         184
        .size:           4
        .value_kind:     hidden_block_count_x
      - .offset:         188
        .size:           4
        .value_kind:     hidden_block_count_y
      - .offset:         192
        .size:           4
        .value_kind:     hidden_block_count_z
      - .offset:         196
        .size:           2
        .value_kind:     hidden_group_size_x
      - .offset:         198
        .size:           2
        .value_kind:     hidden_group_size_y
      - .offset:         200
        .size:           2
        .value_kind:     hidden_group_size_z
      - .offset:         202
        .size:           2
        .value_kind:     hidden_remainder_x
      - .offset:         204
        .size:           2
        .value_kind:     hidden_remainder_y
      - .offset:         206
        .size:           2
        .value_kind:     hidden_remainder_z
      - .offset:         224
        .size:           8
        .value_kind:     hidden_global_offset_x
      - .offset:         232
        .size:           8
        .value_kind:     hidden_global_offset_y
      - .offset:         240
        .size:           8
        .value_kind:     hidden_global_offset_z
      - .offset:         248
        .size:           2
        .value_kind:     hidden_grid_dims
      - .offset:         304
        .size:           4
        .value_kind:     hidden_dynamic_lds_size
    .group_segment_fixed_size: 0
    .kernarg_segment_align: 8
    .kernarg_segment_size: 440
    .language:       OpenCL C
    .language_version:
      - 2
      - 0
    .max_flat_workgroup_size: 1024
    .name:           _ZN2at6native12_GLOBAL__N_135conv_depthwise2d_grad_weight_kernelIN3c104HalfEjEEvN5torch10headeronly6detail27GenericPackedTensorAccessorINS7_14TensorAccessorINS3_8ArrayRefIlEEKT_Lm3ENS6_16DefaultPtrTraitsEiEENS_6detail16IndexBoundsCheckILm4EiEESD_Lm4ESE_iEESJ_NS8_INS9_ISB_SC_Lm3ESE_iEESI_SC_Lm4ESE_iEEiiiiiiiiiiiiiiii
    .private_segment_fixed_size: 0
    .sgpr_count:     44
    .sgpr_spill_count: 0
    .symbol:         _ZN2at6native12_GLOBAL__N_135conv_depthwise2d_grad_weight_kernelIN3c104HalfEjEEvN5torch10headeronly6detail27GenericPackedTensorAccessorINS7_14TensorAccessorINS3_8ArrayRefIlEEKT_Lm3ENS6_16DefaultPtrTraitsEiEENS_6detail16IndexBoundsCheckILm4EiEESD_Lm4ESE_iEESJ_NS8_INS9_ISB_SC_Lm3ESE_iEESI_SC_Lm4ESE_iEEiiiiiiiiiiiiiiii.kd
    .uniform_work_group_size: 1
    .uses_dynamic_stack: false
    .vgpr_count:     18
    .vgpr_spill_count: 0
    .wavefront_size: 64
  - .args:
      - .offset:         0
        .size:           40
        .value_kind:     by_value
      - .offset:         40
        .size:           40
        .value_kind:     by_value
      - .offset:         80
        .size:           40
        .value_kind:     by_value
      - .offset:         120
        .size:           4
        .value_kind:     by_value
      - .offset:         124
        .size:           4
        .value_kind:     by_value
      - .offset:         128
        .size:           4
        .value_kind:     by_value
      - .offset:         132
        .size:           4
        .value_kind:     by_value
      - .offset:         136
        .size:           4
        .value_kind:     by_value
      - .offset:         140
        .size:           4
        .value_kind:     by_value
      - .offset:         144
        .size:           4
        .value_kind:     by_value
      - .offset:         148
        .size:           4
        .value_kind:     by_value
      - .offset:         152
        .size:           4
        .value_kind:     by_value
      - .offset:         156
        .size:           4
        .value_kind:     by_value
      - .offset:         160
        .size:           4
        .value_kind:     by_value
      - .offset:         164
        .size:           4
        .value_kind:     by_value
      - .offset:         168
        .size:           4
        .value_kind:     by_value
      - .offset:         172
        .size:           4
        .value_kind:     by_value
      - .offset:         176
        .size:           4
        .value_kind:     by_value
      - .offset:         180
        .size:           4
        .value_kind:     by_value
      - .offset:         184
        .size:           4
        .value_kind:     hidden_block_count_x
      - .offset:         188
        .size:           4
        .value_kind:     hidden_block_count_y
      - .offset:         192
        .size:           4
        .value_kind:     hidden_block_count_z
      - .offset:         196
        .size:           2
        .value_kind:     hidden_group_size_x
      - .offset:         198
        .size:           2
        .value_kind:     hidden_group_size_y
      - .offset:         200
        .size:           2
        .value_kind:     hidden_group_size_z
      - .offset:         202
        .size:           2
        .value_kind:     hidden_remainder_x
      - .offset:         204
        .size:           2
        .value_kind:     hidden_remainder_y
      - .offset:         206
        .size:           2
        .value_kind:     hidden_remainder_z
      - .offset:         224
        .size:           8
        .value_kind:     hidden_global_offset_x
      - .offset:         232
        .size:           8
        .value_kind:     hidden_global_offset_y
      - .offset:         240
        .size:           8
        .value_kind:     hidden_global_offset_z
      - .offset:         248
        .size:           2
        .value_kind:     hidden_grid_dims
      - .offset:         304
        .size:           4
        .value_kind:     hidden_dynamic_lds_size
    .group_segment_fixed_size: 0
    .kernarg_segment_align: 8
    .kernarg_segment_size: 440
    .language:       OpenCL C
    .language_version:
      - 2
      - 0
    .max_flat_workgroup_size: 1024
    .name:           _ZN2at6native12_GLOBAL__N_135conv_depthwise2d_grad_weight_kernelIN3c108BFloat16EjEEvN5torch10headeronly6detail27GenericPackedTensorAccessorINS7_14TensorAccessorINS3_8ArrayRefIlEEKT_Lm3ENS6_16DefaultPtrTraitsEiEENS_6detail16IndexBoundsCheckILm4EiEESD_Lm4ESE_iEESJ_NS8_INS9_ISB_SC_Lm3ESE_iEESI_SC_Lm4ESE_iEEiiiiiiiiiiiiiiii
    .private_segment_fixed_size: 0
    .sgpr_count:     44
    .sgpr_spill_count: 0
    .symbol:         _ZN2at6native12_GLOBAL__N_135conv_depthwise2d_grad_weight_kernelIN3c108BFloat16EjEEvN5torch10headeronly6detail27GenericPackedTensorAccessorINS7_14TensorAccessorINS3_8ArrayRefIlEEKT_Lm3ENS6_16DefaultPtrTraitsEiEENS_6detail16IndexBoundsCheckILm4EiEESD_Lm4ESE_iEESJ_NS8_INS9_ISB_SC_Lm3ESE_iEESI_SC_Lm4ESE_iEEiiiiiiiiiiiiiiii.kd
    .uniform_work_group_size: 1
    .uses_dynamic_stack: false
    .vgpr_count:     19
    .vgpr_spill_count: 0
    .wavefront_size: 64
amdhsa.target:   amdgcn-amd-amdhsa--gfx906
amdhsa.version:
  - 1
  - 2
...

	.end_amdgpu_metadata
